;; amdgpu-corpus repo=zjin-lcf/HeCBench kind=compiled arch=gfx90a opt=O3
	.text
	.amdgcn_target "amdgcn-amd-amdhsa--gfx90a"
	.amdhsa_code_object_version 6
	.section	.text._Z32nll_loss_forward_reduce2d_kernelIffiLi64EEvPT_S1_PKS0_PKT1_S3_blll,"axG",@progbits,_Z32nll_loss_forward_reduce2d_kernelIffiLi64EEvPT_S1_PKS0_PKT1_S3_blll,comdat
	.protected	_Z32nll_loss_forward_reduce2d_kernelIffiLi64EEvPT_S1_PKS0_PKT1_S3_blll ; -- Begin function _Z32nll_loss_forward_reduce2d_kernelIffiLi64EEvPT_S1_PKS0_PKT1_S3_blll
	.globl	_Z32nll_loss_forward_reduce2d_kernelIffiLi64EEvPT_S1_PKS0_PKT1_S3_blll
	.p2align	8
	.type	_Z32nll_loss_forward_reduce2d_kernelIffiLi64EEvPT_S1_PKS0_PKT1_S3_blll,@function
_Z32nll_loss_forward_reduce2d_kernelIffiLi64EEvPT_S1_PKS0_PKT1_S3_blll: ; @_Z32nll_loss_forward_reduce2d_kernelIffiLi64EEvPT_S1_PKS0_PKT1_S3_blll
; %bb.0:
	s_load_dwordx4 s[12:15], s[4:5], 0x30
	s_load_dwordx4 s[8:11], s[4:5], 0x0
	v_mov_b32_e32 v1, 0
	v_lshlrev_b32_e32 v10, 2, v0
	ds_write2st64_b32 v10, v1, v1 offset1:1
	s_waitcnt lgkmcnt(0)
	v_cmp_gt_i64_e32 vcc, s[12:13], v[0:1]
	s_and_saveexec_b64 s[6:7], vcc
	s_cbranch_execz .LBB0_8
; %bb.1:
	v_mad_u64_u32 v[2:3], s[24:25], s14, v0, 0
	s_load_dwordx2 s[16:17], s[4:5], 0x20
	s_load_dwordx4 s[0:3], s[4:5], 0x10
	s_load_dwordx2 s[18:19], s[4:5], 0x40
	v_mov_b32_e32 v4, v3
	v_mad_u64_u32 v[4:5], s[24:25], s15, v0, v[4:5]
	v_mov_b32_e32 v3, v4
	v_lshlrev_b64 v[2:3], 2, v[2:3]
	s_waitcnt lgkmcnt(0)
	s_cmp_lg_u64 s[16:17], 0
	v_mov_b32_e32 v4, s1
	v_add_co_u32_e32 v2, vcc, s0, v2
	s_cselect_b64 s[22:23], -1, 0
	v_addc_co_u32_e32 v3, vcc, v4, v3, vcc
	v_lshlrev_b32_e32 v4, 2, v0
	s_lshl_b64 s[14:15], s[14:15], 8
	v_mov_b32_e32 v5, s3
	v_add_co_u32_e32 v4, vcc, s2, v4
	v_cndmask_b32_e64 v6, 0, 1, s[22:23]
	v_add_u32_e32 v11, 0x100, v10
	s_mov_b64 s[20:21], 0
	v_addc_co_u32_e32 v5, vcc, 0, v5, vcc
	v_cmp_ne_u32_e64 s[0:1], 1, v6
	v_mov_b32_e32 v12, s15
	v_mov_b32_e32 v13, v1
	v_pk_mov_b32 v[6:7], v[0:1], v[0:1] op_sel:[0,1]
	s_branch .LBB0_5
.LBB0_2:                                ;   in Loop: Header=BB0_5 Depth=1
	v_mov_b32_e32 v15, s17
	v_add_co_u32_e32 v14, vcc, s16, v8
	v_addc_co_u32_e32 v15, vcc, v15, v9, vcc
	global_load_dword v14, v[14:15], off
.LBB0_3:                                ;   in Loop: Header=BB0_5 Depth=1
	v_add_co_u32_e32 v8, vcc, v2, v8
	v_addc_co_u32_e32 v9, vcc, v3, v9, vcc
	global_load_dword v8, v[8:9], off
	s_waitcnt vmcnt(1)
	v_add_f32_e32 v1, v14, v1
	s_waitcnt vmcnt(0)
	v_fma_f32 v13, -v14, v8, v13
	ds_write_b32 v11, v13
	ds_write_b32 v10, v1
.LBB0_4:                                ;   in Loop: Header=BB0_5 Depth=1
	s_or_b64 exec, exec, s[2:3]
	v_add_co_u32_e32 v6, vcc, 64, v6
	v_addc_co_u32_e32 v7, vcc, 0, v7, vcc
	v_add_co_u32_e32 v2, vcc, s14, v2
	v_addc_co_u32_e32 v3, vcc, v3, v12, vcc
	v_add_co_u32_e32 v4, vcc, 0x100, v4
	v_cmp_le_i64_e64 s[2:3], s[12:13], v[6:7]
	s_or_b64 s[20:21], s[2:3], s[20:21]
	v_addc_co_u32_e32 v5, vcc, 0, v5, vcc
	s_andn2_b64 exec, exec, s[20:21]
	s_cbranch_execz .LBB0_8
.LBB0_5:                                ; =>This Inner Loop Header: Depth=1
	global_load_dword v8, v[4:5], off
	s_waitcnt vmcnt(0)
	v_ashrrev_i32_e32 v9, 31, v8
	v_cmp_ne_u64_e32 vcc, s[18:19], v[8:9]
	s_and_saveexec_b64 s[2:3], vcc
	s_cbranch_execz .LBB0_4
; %bb.6:                                ;   in Loop: Header=BB0_5 Depth=1
	s_and_b64 vcc, exec, s[0:1]
	v_lshlrev_b64 v[8:9], 2, v[8:9]
	s_cbranch_vccz .LBB0_2
; %bb.7:                                ;   in Loop: Header=BB0_5 Depth=1
	v_mov_b32_e32 v14, 1.0
	s_branch .LBB0_3
.LBB0_8:
	s_or_b64 exec, exec, s[6:7]
; %bb.9:
	v_cmp_eq_u32_e32 vcc, 0, v0
	s_waitcnt lgkmcnt(0)
	s_barrier
	s_and_saveexec_b64 s[0:1], vcc
	s_cbranch_execz .LBB0_11
; %bb.10:
	v_mov_b32_e32 v0, 0
	ds_read_b128 v[2:5], v0
	ds_read_b128 v[6:9], v0 offset:16
	ds_read_b128 v[10:13], v0 offset:32
	;; [unrolled: 1-line block ×3, first 2 shown]
	ds_read2_b64 v[18:21], v0 offset0:32 offset1:33
	ds_read2_b32 v[26:27], v0 offset0:65 offset1:66
	ds_read2_b32 v[28:29], v0 offset0:67 offset1:68
	ds_read2_b64 v[22:25], v0 offset0:34 offset1:35
	ds_read2_b32 v[30:31], v0 offset0:69 offset1:70
	ds_read2_b32 v[32:33], v0 offset0:71 offset1:72
	s_waitcnt lgkmcnt(5)
	v_mov_b32_e32 v19, v2
	v_pk_add_f32 v[18:19], v[18:19], 0 op_sel_hi:[1,0]
	s_waitcnt lgkmcnt(4)
	v_mov_b32_e32 v27, v3
	v_pk_add_f32 v[2:3], v[18:19], v[26:27]
	v_mov_b32_e32 v21, v4
	v_pk_add_f32 v[2:3], v[2:3], v[20:21]
	s_waitcnt lgkmcnt(3)
	v_mov_b32_e32 v29, v5
	v_pk_add_f32 v[2:3], v[2:3], v[28:29]
	s_waitcnt lgkmcnt(2)
	;; [unrolled: 3-line block ×3, first 2 shown]
	v_mov_b32_e32 v31, v7
	v_pk_add_f32 v[2:3], v[2:3], v[30:31]
	v_mov_b32_e32 v25, v8
	v_pk_add_f32 v[2:3], v[2:3], v[24:25]
	s_waitcnt lgkmcnt(0)
	v_mov_b32_e32 v33, v9
	v_pk_add_f32 v[22:23], v[2:3], v[32:33]
	ds_read2_b64 v[2:5], v0 offset0:36 offset1:37
	ds_read2_b32 v[24:25], v0 offset0:73 offset1:74
	ds_read2_b32 v[26:27], v0 offset0:75 offset1:76
	ds_read2_b64 v[6:9], v0 offset0:38 offset1:39
	ds_read2_b32 v[28:29], v0 offset0:77 offset1:78
	ds_read2_b32 v[30:31], v0 offset0:79 offset1:80
	ds_read2_b64 v[18:21], v0 offset0:40 offset1:41
	ds_read2_b32 v[32:33], v0 offset0:81 offset1:82
	s_waitcnt lgkmcnt(7)
	v_mov_b32_e32 v3, v10
	v_pk_add_f32 v[2:3], v[22:23], v[2:3]
	s_waitcnt lgkmcnt(6)
	v_mov_b32_e32 v25, v11
	v_pk_add_f32 v[2:3], v[2:3], v[24:25]
	v_mov_b32_e32 v5, v12
	v_pk_add_f32 v[2:3], v[2:3], v[4:5]
	s_waitcnt lgkmcnt(5)
	v_mov_b32_e32 v27, v13
	v_pk_add_f32 v[2:3], v[2:3], v[26:27]
	s_waitcnt lgkmcnt(4)
	;; [unrolled: 3-line block ×3, first 2 shown]
	v_mov_b32_e32 v29, v15
	v_pk_add_f32 v[6:7], v[2:3], v[28:29]
	ds_read_b128 v[2:5], v0 offset:64
	v_mov_b32_e32 v9, v16
	v_pk_add_f32 v[6:7], v[6:7], v[8:9]
	s_waitcnt lgkmcnt(3)
	v_mov_b32_e32 v31, v17
	v_pk_add_f32 v[10:11], v[6:7], v[30:31]
	ds_read_b128 v[6:9], v0 offset:80
	s_waitcnt lgkmcnt(1)
	v_mov_b32_e32 v19, v2
	v_pk_add_f32 v[10:11], v[10:11], v[18:19]
	v_mov_b32_e32 v33, v3
	v_pk_add_f32 v[2:3], v[10:11], v[32:33]
	;; [unrolled: 2-line block ×3, first 2 shown]
	ds_read2_b32 v[30:31], v0 offset0:83 offset1:84
	ds_read2_b64 v[10:13], v0 offset0:42 offset1:43
	ds_read2_b32 v[32:33], v0 offset0:85 offset1:86
	ds_read2_b32 v[34:35], v0 offset0:87 offset1:88
	ds_read2_b64 v[14:17], v0 offset0:44 offset1:45
	ds_read2_b32 v[36:37], v0 offset0:89 offset1:90
	ds_read2_b32 v[38:39], v0 offset0:91 offset1:92
	ds_read2_b64 v[18:21], v0 offset0:46 offset1:47
	ds_read_b128 v[22:25], v0 offset:96
	ds_read_b128 v[26:29], v0 offset:112
	s_waitcnt lgkmcnt(9)
	v_mov_b32_e32 v31, v5
	v_pk_add_f32 v[2:3], v[2:3], v[30:31]
	s_waitcnt lgkmcnt(8)
	v_mov_b32_e32 v11, v6
	v_pk_add_f32 v[2:3], v[2:3], v[10:11]
	;; [unrolled: 3-line block ×3, first 2 shown]
	v_mov_b32_e32 v13, v8
	v_pk_add_f32 v[2:3], v[2:3], v[12:13]
	s_waitcnt lgkmcnt(6)
	v_mov_b32_e32 v35, v9
	v_pk_add_f32 v[2:3], v[2:3], v[34:35]
	s_waitcnt lgkmcnt(1)
	v_mov_b32_e32 v15, v22
	v_pk_add_f32 v[2:3], v[2:3], v[14:15]
	v_mov_b32_e32 v37, v23
	v_pk_add_f32 v[2:3], v[2:3], v[36:37]
	;; [unrolled: 2-line block ×3, first 2 shown]
	v_mov_b32_e32 v39, v25
	ds_read2_b32 v[4:5], v0 offset0:93 offset1:94
	v_pk_add_f32 v[2:3], v[2:3], v[38:39]
	s_waitcnt lgkmcnt(1)
	v_mov_b32_e32 v19, v26
	v_pk_add_f32 v[2:3], v[2:3], v[18:19]
	ds_read2_b32 v[18:19], v0 offset0:95 offset1:96
	s_waitcnt lgkmcnt(1)
	v_mov_b32_e32 v5, v27
	v_pk_add_f32 v[26:27], v[2:3], v[4:5]
	v_mov_b32_e32 v21, v28
	ds_read2_b64 v[2:5], v0 offset0:48 offset1:49
	ds_read2_b32 v[30:31], v0 offset0:97 offset1:98
	ds_read2_b32 v[32:33], v0 offset0:99 offset1:100
	ds_read2_b64 v[6:9], v0 offset0:50 offset1:51
	ds_read_b128 v[10:13], v0 offset:128
	ds_read_b128 v[14:17], v0 offset:144
	ds_read2_b32 v[34:35], v0 offset0:101 offset1:102
	ds_read2_b32 v[36:37], v0 offset0:103 offset1:104
	ds_read_b128 v[22:25], v0 offset:160
	v_pk_add_f32 v[20:21], v[26:27], v[20:21]
	s_waitcnt lgkmcnt(9)
	v_mov_b32_e32 v19, v29
	v_pk_add_f32 v[18:19], v[20:21], v[18:19]
	s_waitcnt lgkmcnt(4)
	v_mov_b32_e32 v3, v10
	v_pk_add_f32 v[2:3], v[18:19], v[2:3]
	v_mov_b32_e32 v31, v11
	v_pk_add_f32 v[2:3], v[2:3], v[30:31]
	v_mov_b32_e32 v5, v12
	v_pk_add_f32 v[2:3], v[2:3], v[4:5]
	v_mov_b32_e32 v33, v13
	v_pk_add_f32 v[2:3], v[2:3], v[32:33]
	s_waitcnt lgkmcnt(3)
	v_mov_b32_e32 v7, v14
	v_pk_add_f32 v[2:3], v[2:3], v[6:7]
	s_waitcnt lgkmcnt(2)
	v_mov_b32_e32 v35, v15
	v_pk_add_f32 v[2:3], v[2:3], v[34:35]
	v_mov_b32_e32 v9, v16
	v_pk_add_f32 v[6:7], v[2:3], v[8:9]
	ds_read2_b64 v[2:5], v0 offset0:52 offset1:53
	s_waitcnt lgkmcnt(2)
	v_mov_b32_e32 v37, v17
	v_pk_add_f32 v[10:11], v[6:7], v[36:37]
	ds_read2_b32 v[18:19], v0 offset0:105 offset1:106
	ds_read_b128 v[6:9], v0 offset:176
	s_waitcnt lgkmcnt(2)
	v_mov_b32_e32 v3, v22
	v_pk_add_f32 v[2:3], v[10:11], v[2:3]
	s_waitcnt lgkmcnt(1)
	v_mov_b32_e32 v19, v23
	ds_read2_b32 v[20:21], v0 offset0:107 offset1:108
	ds_read2_b64 v[10:13], v0 offset0:54 offset1:55
	ds_read2_b32 v[26:27], v0 offset0:109 offset1:110
	ds_read2_b32 v[28:29], v0 offset0:111 offset1:112
	ds_read2_b64 v[14:17], v0 offset0:56 offset1:57
	ds_read2_b32 v[30:31], v0 offset0:113 offset1:114
	v_pk_add_f32 v[2:3], v[2:3], v[18:19]
	v_mov_b32_e32 v5, v24
	v_pk_add_f32 v[2:3], v[2:3], v[4:5]
	s_waitcnt lgkmcnt(5)
	v_mov_b32_e32 v21, v25
	v_pk_add_f32 v[2:3], v[2:3], v[20:21]
	s_waitcnt lgkmcnt(4)
	;; [unrolled: 3-line block ×3, first 2 shown]
	v_mov_b32_e32 v27, v7
	v_pk_add_f32 v[6:7], v[2:3], v[26:27]
	ds_read_b128 v[2:5], v0 offset:192
	v_mov_b32_e32 v13, v8
	v_pk_add_f32 v[6:7], v[6:7], v[12:13]
	s_waitcnt lgkmcnt(3)
	v_mov_b32_e32 v29, v9
	v_pk_add_f32 v[10:11], v[6:7], v[28:29]
	ds_read_b128 v[6:9], v0 offset:208
	s_waitcnt lgkmcnt(1)
	v_mov_b32_e32 v15, v2
	v_pk_add_f32 v[10:11], v[10:11], v[14:15]
	v_mov_b32_e32 v31, v3
	ds_read2_b32 v[14:15], v0 offset0:115 offset1:116
	v_pk_add_f32 v[2:3], v[10:11], v[30:31]
	ds_read2_b64 v[10:13], v0 offset0:58 offset1:59
	v_mov_b32_e32 v17, v4
	v_pk_add_f32 v[2:3], v[2:3], v[16:17]
	s_waitcnt lgkmcnt(1)
	v_mov_b32_e32 v15, v5
	v_pk_add_f32 v[26:27], v[2:3], v[14:15]
	ds_read2_b32 v[28:29], v0 offset0:117 offset1:118
	ds_read2_b32 v[30:31], v0 offset0:119 offset1:120
	ds_read2_b32 v[32:33], v0 offset0:123 offset1:124
	ds_read2_b64 v[2:5], v0 offset0:62 offset1:63
	ds_read2_b64 v[14:17], v0 offset0:60 offset1:61
	ds_read2_b32 v[34:35], v0 offset0:121 offset1:122
	ds_read_b128 v[18:21], v0 offset:224
	ds_read_b128 v[22:25], v0 offset:240
	ds_read2_b32 v[36:37], v0 offset0:125 offset1:126
	s_waitcnt lgkmcnt(9)
	v_mov_b32_e32 v11, v6
	v_pk_add_f32 v[10:11], v[26:27], v[10:11]
	s_waitcnt lgkmcnt(8)
	v_mov_b32_e32 v29, v7
	v_pk_add_f32 v[6:7], v[10:11], v[28:29]
	v_mov_b32_e32 v13, v8
	v_pk_add_f32 v[6:7], v[6:7], v[12:13]
	s_waitcnt lgkmcnt(7)
	v_mov_b32_e32 v31, v9
	v_pk_add_f32 v[6:7], v[6:7], v[30:31]
	s_waitcnt lgkmcnt(2)
	v_mov_b32_e32 v15, v18
	v_pk_add_f32 v[6:7], v[6:7], v[14:15]
	v_mov_b32_e32 v35, v19
	v_pk_add_f32 v[6:7], v[6:7], v[34:35]
	;; [unrolled: 2-line block ×4, first 2 shown]
	s_waitcnt lgkmcnt(1)
	v_mov_b32_e32 v3, v22
	v_pk_add_f32 v[2:3], v[6:7], v[2:3]
	s_waitcnt lgkmcnt(0)
	v_mov_b32_e32 v37, v23
	v_mov_b32_e32 v38, v5
	v_pk_add_f32 v[2:3], v[2:3], v[36:37]
	v_mov_b32_e32 v5, v24
	v_pk_add_f32 v[2:3], v[2:3], v[4:5]
	;; [unrolled: 2-line block ×3, first 2 shown]
	v_div_scale_f32 v1, s[2:3], v3, v3, v2
	v_rcp_f32_e32 v4, v1
	s_load_dword s0, s[4:5], 0x28
	global_store_dword v0, v3, s[10:11]
	v_fma_f32 v5, -v1, v4, 1.0
	v_fmac_f32_e32 v4, v5, v4
	v_div_scale_f32 v5, vcc, v2, v3, v2
	v_mul_f32_e32 v6, v5, v4
	v_fma_f32 v7, -v1, v6, v5
	v_fmac_f32_e32 v6, v7, v4
	v_fma_f32 v1, -v1, v6, v5
	s_waitcnt lgkmcnt(0)
	s_bitcmp1_b32 s0, 0
	v_div_fmas_f32 v1, v1, v4, v6
	v_div_fixup_f32 v1, v1, v3, v2
	s_cselect_b64 vcc, -1, 0
	v_cndmask_b32_e32 v1, v2, v1, vcc
	global_store_dword v0, v1, s[8:9]
.LBB0_11:
	s_endpgm
	.section	.rodata,"a",@progbits
	.p2align	6, 0x0
	.amdhsa_kernel _Z32nll_loss_forward_reduce2d_kernelIffiLi64EEvPT_S1_PKS0_PKT1_S3_blll
		.amdhsa_group_segment_fixed_size 512
		.amdhsa_private_segment_fixed_size 0
		.amdhsa_kernarg_size 72
		.amdhsa_user_sgpr_count 6
		.amdhsa_user_sgpr_private_segment_buffer 1
		.amdhsa_user_sgpr_dispatch_ptr 0
		.amdhsa_user_sgpr_queue_ptr 0
		.amdhsa_user_sgpr_kernarg_segment_ptr 1
		.amdhsa_user_sgpr_dispatch_id 0
		.amdhsa_user_sgpr_flat_scratch_init 0
		.amdhsa_user_sgpr_kernarg_preload_length 0
		.amdhsa_user_sgpr_kernarg_preload_offset 0
		.amdhsa_user_sgpr_private_segment_size 0
		.amdhsa_uses_dynamic_stack 0
		.amdhsa_system_sgpr_private_segment_wavefront_offset 0
		.amdhsa_system_sgpr_workgroup_id_x 1
		.amdhsa_system_sgpr_workgroup_id_y 0
		.amdhsa_system_sgpr_workgroup_id_z 0
		.amdhsa_system_sgpr_workgroup_info 0
		.amdhsa_system_vgpr_workitem_id 0
		.amdhsa_next_free_vgpr 40
		.amdhsa_next_free_sgpr 26
		.amdhsa_accum_offset 40
		.amdhsa_reserve_vcc 1
		.amdhsa_reserve_flat_scratch 0
		.amdhsa_float_round_mode_32 0
		.amdhsa_float_round_mode_16_64 0
		.amdhsa_float_denorm_mode_32 3
		.amdhsa_float_denorm_mode_16_64 3
		.amdhsa_dx10_clamp 1
		.amdhsa_ieee_mode 1
		.amdhsa_fp16_overflow 0
		.amdhsa_tg_split 0
		.amdhsa_exception_fp_ieee_invalid_op 0
		.amdhsa_exception_fp_denorm_src 0
		.amdhsa_exception_fp_ieee_div_zero 0
		.amdhsa_exception_fp_ieee_overflow 0
		.amdhsa_exception_fp_ieee_underflow 0
		.amdhsa_exception_fp_ieee_inexact 0
		.amdhsa_exception_int_div_zero 0
	.end_amdhsa_kernel
	.section	.text._Z32nll_loss_forward_reduce2d_kernelIffiLi64EEvPT_S1_PKS0_PKT1_S3_blll,"axG",@progbits,_Z32nll_loss_forward_reduce2d_kernelIffiLi64EEvPT_S1_PKS0_PKT1_S3_blll,comdat
.Lfunc_end0:
	.size	_Z32nll_loss_forward_reduce2d_kernelIffiLi64EEvPT_S1_PKS0_PKT1_S3_blll, .Lfunc_end0-_Z32nll_loss_forward_reduce2d_kernelIffiLi64EEvPT_S1_PKS0_PKT1_S3_blll
                                        ; -- End function
	.section	.AMDGPU.csdata,"",@progbits
; Kernel info:
; codeLenInByte = 1948
; NumSgprs: 30
; NumVgprs: 40
; NumAgprs: 0
; TotalNumVgprs: 40
; ScratchSize: 0
; MemoryBound: 0
; FloatMode: 240
; IeeeMode: 1
; LDSByteSize: 512 bytes/workgroup (compile time only)
; SGPRBlocks: 3
; VGPRBlocks: 4
; NumSGPRsForWavesPerEU: 30
; NumVGPRsForWavesPerEU: 40
; AccumOffset: 40
; Occupancy: 8
; WaveLimiterHint : 1
; COMPUTE_PGM_RSRC2:SCRATCH_EN: 0
; COMPUTE_PGM_RSRC2:USER_SGPR: 6
; COMPUTE_PGM_RSRC2:TRAP_HANDLER: 0
; COMPUTE_PGM_RSRC2:TGID_X_EN: 1
; COMPUTE_PGM_RSRC2:TGID_Y_EN: 0
; COMPUTE_PGM_RSRC2:TGID_Z_EN: 0
; COMPUTE_PGM_RSRC2:TIDIG_COMP_CNT: 0
; COMPUTE_PGM_RSRC3_GFX90A:ACCUM_OFFSET: 9
; COMPUTE_PGM_RSRC3_GFX90A:TG_SPLIT: 0
	.section	.text._Z32nll_loss_forward_reduce2d_kernelIffiLi128EEvPT_S1_PKS0_PKT1_S3_blll,"axG",@progbits,_Z32nll_loss_forward_reduce2d_kernelIffiLi128EEvPT_S1_PKS0_PKT1_S3_blll,comdat
	.protected	_Z32nll_loss_forward_reduce2d_kernelIffiLi128EEvPT_S1_PKS0_PKT1_S3_blll ; -- Begin function _Z32nll_loss_forward_reduce2d_kernelIffiLi128EEvPT_S1_PKS0_PKT1_S3_blll
	.globl	_Z32nll_loss_forward_reduce2d_kernelIffiLi128EEvPT_S1_PKS0_PKT1_S3_blll
	.p2align	8
	.type	_Z32nll_loss_forward_reduce2d_kernelIffiLi128EEvPT_S1_PKS0_PKT1_S3_blll,@function
_Z32nll_loss_forward_reduce2d_kernelIffiLi128EEvPT_S1_PKS0_PKT1_S3_blll: ; @_Z32nll_loss_forward_reduce2d_kernelIffiLi128EEvPT_S1_PKS0_PKT1_S3_blll
; %bb.0:
	s_load_dwordx4 s[12:15], s[4:5], 0x30
	s_load_dwordx4 s[8:11], s[4:5], 0x0
	v_mov_b32_e32 v1, 0
	v_lshlrev_b32_e32 v10, 2, v0
	ds_write2st64_b32 v10, v1, v1 offset1:2
	s_waitcnt lgkmcnt(0)
	v_cmp_gt_i64_e32 vcc, s[12:13], v[0:1]
	s_and_saveexec_b64 s[6:7], vcc
	s_cbranch_execz .LBB1_8
; %bb.1:
	v_mad_u64_u32 v[2:3], s[24:25], s14, v0, 0
	s_load_dwordx2 s[16:17], s[4:5], 0x20
	s_load_dwordx4 s[0:3], s[4:5], 0x10
	s_load_dwordx2 s[18:19], s[4:5], 0x40
	v_mov_b32_e32 v4, v3
	v_mad_u64_u32 v[4:5], s[24:25], s15, v0, v[4:5]
	v_mov_b32_e32 v3, v4
	v_lshlrev_b64 v[2:3], 2, v[2:3]
	s_waitcnt lgkmcnt(0)
	s_cmp_lg_u64 s[16:17], 0
	v_mov_b32_e32 v4, s1
	v_add_co_u32_e32 v2, vcc, s0, v2
	s_cselect_b64 s[22:23], -1, 0
	v_addc_co_u32_e32 v3, vcc, v4, v3, vcc
	v_lshlrev_b32_e32 v4, 2, v0
	s_lshl_b64 s[14:15], s[14:15], 9
	v_mov_b32_e32 v5, s3
	v_add_co_u32_e32 v4, vcc, s2, v4
	v_cndmask_b32_e64 v6, 0, 1, s[22:23]
	v_add_u32_e32 v11, 0x200, v10
	s_mov_b64 s[20:21], 0
	v_addc_co_u32_e32 v5, vcc, 0, v5, vcc
	v_cmp_ne_u32_e64 s[0:1], 1, v6
	v_mov_b32_e32 v12, s15
	v_mov_b32_e32 v13, v1
	v_pk_mov_b32 v[6:7], v[0:1], v[0:1] op_sel:[0,1]
	s_branch .LBB1_5
.LBB1_2:                                ;   in Loop: Header=BB1_5 Depth=1
	v_mov_b32_e32 v15, s17
	v_add_co_u32_e32 v14, vcc, s16, v8
	v_addc_co_u32_e32 v15, vcc, v15, v9, vcc
	global_load_dword v14, v[14:15], off
.LBB1_3:                                ;   in Loop: Header=BB1_5 Depth=1
	v_add_co_u32_e32 v8, vcc, v2, v8
	v_addc_co_u32_e32 v9, vcc, v3, v9, vcc
	global_load_dword v8, v[8:9], off
	s_waitcnt vmcnt(1)
	v_add_f32_e32 v1, v14, v1
	s_waitcnt vmcnt(0)
	v_fma_f32 v13, -v14, v8, v13
	ds_write_b32 v11, v13
	ds_write_b32 v10, v1
.LBB1_4:                                ;   in Loop: Header=BB1_5 Depth=1
	s_or_b64 exec, exec, s[2:3]
	v_add_co_u32_e32 v6, vcc, 0x80, v6
	v_addc_co_u32_e32 v7, vcc, 0, v7, vcc
	v_add_co_u32_e32 v2, vcc, s14, v2
	v_addc_co_u32_e32 v3, vcc, v3, v12, vcc
	v_add_co_u32_e32 v4, vcc, 0x200, v4
	v_cmp_le_i64_e64 s[2:3], s[12:13], v[6:7]
	s_or_b64 s[20:21], s[2:3], s[20:21]
	v_addc_co_u32_e32 v5, vcc, 0, v5, vcc
	s_andn2_b64 exec, exec, s[20:21]
	s_cbranch_execz .LBB1_8
.LBB1_5:                                ; =>This Inner Loop Header: Depth=1
	global_load_dword v8, v[4:5], off
	s_waitcnt vmcnt(0)
	v_ashrrev_i32_e32 v9, 31, v8
	v_cmp_ne_u64_e32 vcc, s[18:19], v[8:9]
	s_and_saveexec_b64 s[2:3], vcc
	s_cbranch_execz .LBB1_4
; %bb.6:                                ;   in Loop: Header=BB1_5 Depth=1
	s_and_b64 vcc, exec, s[0:1]
	v_lshlrev_b64 v[8:9], 2, v[8:9]
	s_cbranch_vccz .LBB1_2
; %bb.7:                                ;   in Loop: Header=BB1_5 Depth=1
	v_mov_b32_e32 v14, 1.0
	s_branch .LBB1_3
.LBB1_8:
	s_or_b64 exec, exec, s[6:7]
	v_cmp_eq_u32_e32 vcc, 0, v0
	s_waitcnt lgkmcnt(0)
	s_barrier
	s_and_saveexec_b64 s[0:1], vcc
	s_cbranch_execz .LBB1_10
; %bb.9:
	v_mov_b32_e32 v0, 0
	ds_read_b128 v[2:5], v0
	ds_read_b128 v[6:9], v0 offset:512
	ds_read_b128 v[10:13], v0 offset:16
	;; [unrolled: 1-line block ×5, first 2 shown]
	s_waitcnt lgkmcnt(5)
	v_mov_b32_e32 v26, v2
	s_waitcnt lgkmcnt(4)
	v_mov_b32_e32 v27, v6
	v_pk_add_f32 v[26:27], v[26:27], 0 op_sel_hi:[1,0]
	v_mov_b32_e32 v6, v3
	v_pk_add_f32 v[2:3], v[26:27], v[6:7]
	v_mov_b32_e32 v6, v4
	v_mov_b32_e32 v7, v8
	v_pk_add_f32 v[2:3], v[2:3], v[6:7]
	v_mov_b32_e32 v8, v5
	v_pk_add_f32 v[2:3], v[2:3], v[8:9]
	s_waitcnt lgkmcnt(3)
	v_mov_b32_e32 v4, v10
	s_waitcnt lgkmcnt(0)
	v_mov_b32_e32 v5, v22
	v_pk_add_f32 v[2:3], v[2:3], v[4:5]
	v_mov_b32_e32 v22, v11
	v_pk_add_f32 v[2:3], v[2:3], v[22:23]
	v_mov_b32_e32 v4, v12
	v_mov_b32_e32 v5, v24
	v_pk_add_f32 v[6:7], v[2:3], v[4:5]
	ds_read_b128 v[2:5], v0 offset:544
	v_mov_b32_e32 v24, v13
	v_pk_add_f32 v[10:11], v[6:7], v[24:25]
	ds_read_b128 v[6:9], v0 offset:560
	v_mov_b32_e32 v12, v14
	s_waitcnt lgkmcnt(1)
	v_mov_b32_e32 v13, v2
	v_pk_add_f32 v[10:11], v[10:11], v[12:13]
	v_mov_b32_e32 v2, v15
	v_pk_add_f32 v[2:3], v[10:11], v[2:3]
	v_mov_b32_e32 v10, v16
	v_mov_b32_e32 v11, v4
	v_pk_add_f32 v[2:3], v[2:3], v[10:11]
	v_mov_b32_e32 v4, v17
	v_pk_add_f32 v[2:3], v[2:3], v[4:5]
	v_mov_b32_e32 v4, v18
	s_waitcnt lgkmcnt(0)
	v_mov_b32_e32 v5, v6
	v_pk_add_f32 v[2:3], v[2:3], v[4:5]
	v_mov_b32_e32 v6, v19
	v_pk_add_f32 v[2:3], v[2:3], v[6:7]
	v_mov_b32_e32 v4, v20
	v_mov_b32_e32 v5, v8
	v_pk_add_f32 v[6:7], v[2:3], v[4:5]
	ds_read_b128 v[2:5], v0 offset:64
	ds_read_b128 v[10:13], v0 offset:576
	;; [unrolled: 1-line block ×3, first 2 shown]
	v_mov_b32_e32 v8, v21
	v_pk_add_f32 v[18:19], v[6:7], v[8:9]
	ds_read_b128 v[6:9], v0 offset:80
	s_waitcnt lgkmcnt(3)
	v_mov_b32_e32 v20, v2
	s_waitcnt lgkmcnt(2)
	v_mov_b32_e32 v21, v10
	v_pk_add_f32 v[18:19], v[18:19], v[20:21]
	v_mov_b32_e32 v10, v3
	v_pk_add_f32 v[2:3], v[18:19], v[10:11]
	v_mov_b32_e32 v10, v4
	v_mov_b32_e32 v11, v12
	v_pk_add_f32 v[2:3], v[2:3], v[10:11]
	v_mov_b32_e32 v12, v5
	v_pk_add_f32 v[2:3], v[2:3], v[12:13]
	s_waitcnt lgkmcnt(0)
	v_mov_b32_e32 v4, v6
	v_mov_b32_e32 v5, v14
	v_pk_add_f32 v[2:3], v[2:3], v[4:5]
	v_mov_b32_e32 v14, v7
	v_pk_add_f32 v[2:3], v[2:3], v[14:15]
	v_mov_b32_e32 v4, v8
	v_mov_b32_e32 v5, v16
	v_pk_add_f32 v[10:11], v[2:3], v[4:5]
	ds_read_b128 v[2:5], v0 offset:96
	v_mov_b32_e32 v16, v9
	ds_read_b128 v[6:9], v0 offset:608
	v_pk_add_f32 v[18:19], v[10:11], v[16:17]
	ds_read_b128 v[14:17], v0 offset:624
	ds_read_b128 v[10:13], v0 offset:112
	s_waitcnt lgkmcnt(3)
	v_mov_b32_e32 v20, v2
	s_waitcnt lgkmcnt(2)
	v_mov_b32_e32 v21, v6
	v_pk_add_f32 v[18:19], v[18:19], v[20:21]
	v_mov_b32_e32 v6, v3
	v_pk_add_f32 v[2:3], v[18:19], v[6:7]
	v_mov_b32_e32 v6, v4
	v_mov_b32_e32 v7, v8
	v_pk_add_f32 v[2:3], v[2:3], v[6:7]
	v_mov_b32_e32 v8, v5
	v_pk_add_f32 v[2:3], v[2:3], v[8:9]
	s_waitcnt lgkmcnt(0)
	v_mov_b32_e32 v4, v10
	v_mov_b32_e32 v5, v14
	v_pk_add_f32 v[2:3], v[2:3], v[4:5]
	v_mov_b32_e32 v14, v11
	v_pk_add_f32 v[2:3], v[2:3], v[14:15]
	v_mov_b32_e32 v4, v12
	v_mov_b32_e32 v5, v16
	v_pk_add_f32 v[10:11], v[2:3], v[4:5]
	ds_read_b128 v[2:5], v0 offset:128
	ds_read_b128 v[6:9], v0 offset:640
	v_mov_b32_e32 v16, v13
	v_pk_add_f32 v[18:19], v[10:11], v[16:17]
	ds_read_b128 v[14:17], v0 offset:656
	ds_read_b128 v[10:13], v0 offset:144
	s_waitcnt lgkmcnt(3)
	v_mov_b32_e32 v20, v2
	s_waitcnt lgkmcnt(2)
	v_mov_b32_e32 v21, v6
	v_pk_add_f32 v[18:19], v[18:19], v[20:21]
	v_mov_b32_e32 v6, v3
	v_pk_add_f32 v[2:3], v[18:19], v[6:7]
	v_mov_b32_e32 v6, v4
	v_mov_b32_e32 v7, v8
	v_pk_add_f32 v[2:3], v[2:3], v[6:7]
	v_mov_b32_e32 v8, v5
	v_pk_add_f32 v[2:3], v[2:3], v[8:9]
	s_waitcnt lgkmcnt(0)
	v_mov_b32_e32 v4, v10
	v_mov_b32_e32 v5, v14
	v_pk_add_f32 v[2:3], v[2:3], v[4:5]
	v_mov_b32_e32 v14, v11
	v_pk_add_f32 v[2:3], v[2:3], v[14:15]
	v_mov_b32_e32 v4, v12
	v_mov_b32_e32 v5, v16
	v_pk_add_f32 v[10:11], v[2:3], v[4:5]
	ds_read_b128 v[2:5], v0 offset:160
	ds_read_b128 v[6:9], v0 offset:672
	v_mov_b32_e32 v16, v13
	;; [unrolled: 27-line block ×12, first 2 shown]
	v_pk_add_f32 v[18:19], v[10:11], v[16:17]
	ds_read_b128 v[14:17], v0 offset:1008
	ds_read_b128 v[10:13], v0 offset:496
	s_waitcnt lgkmcnt(3)
	v_mov_b32_e32 v20, v2
	s_waitcnt lgkmcnt(2)
	v_mov_b32_e32 v21, v6
	v_pk_add_f32 v[18:19], v[18:19], v[20:21]
	v_mov_b32_e32 v6, v3
	v_pk_add_f32 v[2:3], v[18:19], v[6:7]
	v_mov_b32_e32 v6, v4
	v_mov_b32_e32 v7, v8
	v_pk_add_f32 v[2:3], v[2:3], v[6:7]
	v_mov_b32_e32 v8, v5
	v_pk_add_f32 v[2:3], v[2:3], v[8:9]
	s_waitcnt lgkmcnt(0)
	v_mov_b32_e32 v4, v10
	v_mov_b32_e32 v5, v14
	v_pk_add_f32 v[2:3], v[2:3], v[4:5]
	v_mov_b32_e32 v14, v11
	v_pk_add_f32 v[2:3], v[2:3], v[14:15]
	v_mov_b32_e32 v4, v12
	v_mov_b32_e32 v5, v16
	v_pk_add_f32 v[2:3], v[2:3], v[4:5]
	v_mov_b32_e32 v16, v13
	v_pk_add_f32 v[2:3], v[2:3], v[16:17]
	v_div_scale_f32 v1, s[2:3], v2, v2, v3
	v_rcp_f32_e32 v4, v1
	s_load_dword s0, s[4:5], 0x28
	global_store_dword v0, v2, s[10:11]
	v_fma_f32 v5, -v1, v4, 1.0
	v_fmac_f32_e32 v4, v5, v4
	v_div_scale_f32 v5, vcc, v3, v2, v3
	v_mul_f32_e32 v6, v5, v4
	v_fma_f32 v7, -v1, v6, v5
	v_fmac_f32_e32 v6, v7, v4
	v_fma_f32 v1, -v1, v6, v5
	s_waitcnt lgkmcnt(0)
	s_bitcmp1_b32 s0, 0
	v_div_fmas_f32 v1, v1, v4, v6
	v_div_fixup_f32 v1, v1, v2, v3
	s_cselect_b64 vcc, -1, 0
	v_cndmask_b32_e32 v1, v3, v1, vcc
	global_store_dword v0, v1, s[8:9]
.LBB1_10:
	s_endpgm
	.section	.rodata,"a",@progbits
	.p2align	6, 0x0
	.amdhsa_kernel _Z32nll_loss_forward_reduce2d_kernelIffiLi128EEvPT_S1_PKS0_PKT1_S3_blll
		.amdhsa_group_segment_fixed_size 1024
		.amdhsa_private_segment_fixed_size 0
		.amdhsa_kernarg_size 72
		.amdhsa_user_sgpr_count 6
		.amdhsa_user_sgpr_private_segment_buffer 1
		.amdhsa_user_sgpr_dispatch_ptr 0
		.amdhsa_user_sgpr_queue_ptr 0
		.amdhsa_user_sgpr_kernarg_segment_ptr 1
		.amdhsa_user_sgpr_dispatch_id 0
		.amdhsa_user_sgpr_flat_scratch_init 0
		.amdhsa_user_sgpr_kernarg_preload_length 0
		.amdhsa_user_sgpr_kernarg_preload_offset 0
		.amdhsa_user_sgpr_private_segment_size 0
		.amdhsa_uses_dynamic_stack 0
		.amdhsa_system_sgpr_private_segment_wavefront_offset 0
		.amdhsa_system_sgpr_workgroup_id_x 1
		.amdhsa_system_sgpr_workgroup_id_y 0
		.amdhsa_system_sgpr_workgroup_id_z 0
		.amdhsa_system_sgpr_workgroup_info 0
		.amdhsa_system_vgpr_workitem_id 0
		.amdhsa_next_free_vgpr 28
		.amdhsa_next_free_sgpr 26
		.amdhsa_accum_offset 28
		.amdhsa_reserve_vcc 1
		.amdhsa_reserve_flat_scratch 0
		.amdhsa_float_round_mode_32 0
		.amdhsa_float_round_mode_16_64 0
		.amdhsa_float_denorm_mode_32 3
		.amdhsa_float_denorm_mode_16_64 3
		.amdhsa_dx10_clamp 1
		.amdhsa_ieee_mode 1
		.amdhsa_fp16_overflow 0
		.amdhsa_tg_split 0
		.amdhsa_exception_fp_ieee_invalid_op 0
		.amdhsa_exception_fp_denorm_src 0
		.amdhsa_exception_fp_ieee_div_zero 0
		.amdhsa_exception_fp_ieee_overflow 0
		.amdhsa_exception_fp_ieee_underflow 0
		.amdhsa_exception_fp_ieee_inexact 0
		.amdhsa_exception_int_div_zero 0
	.end_amdhsa_kernel
	.section	.text._Z32nll_loss_forward_reduce2d_kernelIffiLi128EEvPT_S1_PKS0_PKT1_S3_blll,"axG",@progbits,_Z32nll_loss_forward_reduce2d_kernelIffiLi128EEvPT_S1_PKS0_PKT1_S3_blll,comdat
.Lfunc_end1:
	.size	_Z32nll_loss_forward_reduce2d_kernelIffiLi128EEvPT_S1_PKS0_PKT1_S3_blll, .Lfunc_end1-_Z32nll_loss_forward_reduce2d_kernelIffiLi128EEvPT_S1_PKS0_PKT1_S3_blll
                                        ; -- End function
	.section	.AMDGPU.csdata,"",@progbits
; Kernel info:
; codeLenInByte = 3016
; NumSgprs: 30
; NumVgprs: 28
; NumAgprs: 0
; TotalNumVgprs: 28
; ScratchSize: 0
; MemoryBound: 0
; FloatMode: 240
; IeeeMode: 1
; LDSByteSize: 1024 bytes/workgroup (compile time only)
; SGPRBlocks: 3
; VGPRBlocks: 3
; NumSGPRsForWavesPerEU: 30
; NumVGPRsForWavesPerEU: 28
; AccumOffset: 28
; Occupancy: 8
; WaveLimiterHint : 1
; COMPUTE_PGM_RSRC2:SCRATCH_EN: 0
; COMPUTE_PGM_RSRC2:USER_SGPR: 6
; COMPUTE_PGM_RSRC2:TRAP_HANDLER: 0
; COMPUTE_PGM_RSRC2:TGID_X_EN: 1
; COMPUTE_PGM_RSRC2:TGID_Y_EN: 0
; COMPUTE_PGM_RSRC2:TGID_Z_EN: 0
; COMPUTE_PGM_RSRC2:TIDIG_COMP_CNT: 0
; COMPUTE_PGM_RSRC3_GFX90A:ACCUM_OFFSET: 6
; COMPUTE_PGM_RSRC3_GFX90A:TG_SPLIT: 0
	.section	.text._Z32nll_loss_forward_reduce2d_kernelIffiLi256EEvPT_S1_PKS0_PKT1_S3_blll,"axG",@progbits,_Z32nll_loss_forward_reduce2d_kernelIffiLi256EEvPT_S1_PKS0_PKT1_S3_blll,comdat
	.protected	_Z32nll_loss_forward_reduce2d_kernelIffiLi256EEvPT_S1_PKS0_PKT1_S3_blll ; -- Begin function _Z32nll_loss_forward_reduce2d_kernelIffiLi256EEvPT_S1_PKS0_PKT1_S3_blll
	.globl	_Z32nll_loss_forward_reduce2d_kernelIffiLi256EEvPT_S1_PKS0_PKT1_S3_blll
	.p2align	8
	.type	_Z32nll_loss_forward_reduce2d_kernelIffiLi256EEvPT_S1_PKS0_PKT1_S3_blll,@function
_Z32nll_loss_forward_reduce2d_kernelIffiLi256EEvPT_S1_PKS0_PKT1_S3_blll: ; @_Z32nll_loss_forward_reduce2d_kernelIffiLi256EEvPT_S1_PKS0_PKT1_S3_blll
; %bb.0:
	s_load_dwordx4 s[12:15], s[4:5], 0x30
	s_load_dwordx4 s[8:11], s[4:5], 0x0
	v_mov_b32_e32 v1, 0
	v_lshlrev_b32_e32 v10, 2, v0
	ds_write2st64_b32 v10, v1, v1 offset1:4
	s_waitcnt lgkmcnt(0)
	v_cmp_gt_i64_e32 vcc, s[12:13], v[0:1]
	s_and_saveexec_b64 s[6:7], vcc
	s_cbranch_execz .LBB2_8
; %bb.1:
	v_mad_u64_u32 v[2:3], s[24:25], s14, v0, 0
	s_load_dwordx2 s[16:17], s[4:5], 0x20
	s_load_dwordx4 s[0:3], s[4:5], 0x10
	s_load_dwordx2 s[18:19], s[4:5], 0x40
	v_mov_b32_e32 v4, v3
	v_mad_u64_u32 v[4:5], s[24:25], s15, v0, v[4:5]
	v_mov_b32_e32 v3, v4
	v_lshlrev_b64 v[2:3], 2, v[2:3]
	s_waitcnt lgkmcnt(0)
	s_cmp_lg_u64 s[16:17], 0
	v_mov_b32_e32 v4, s1
	v_add_co_u32_e32 v2, vcc, s0, v2
	s_cselect_b64 s[22:23], -1, 0
	v_addc_co_u32_e32 v3, vcc, v4, v3, vcc
	v_lshlrev_b32_e32 v4, 2, v0
	s_lshl_b64 s[14:15], s[14:15], 10
	v_mov_b32_e32 v5, s3
	v_add_co_u32_e32 v4, vcc, s2, v4
	v_cndmask_b32_e64 v6, 0, 1, s[22:23]
	v_add_u32_e32 v11, 0x400, v10
	s_mov_b64 s[20:21], 0
	v_addc_co_u32_e32 v5, vcc, 0, v5, vcc
	v_cmp_ne_u32_e64 s[0:1], 1, v6
	v_mov_b32_e32 v12, s15
	v_mov_b32_e32 v13, v1
	v_pk_mov_b32 v[6:7], v[0:1], v[0:1] op_sel:[0,1]
	s_branch .LBB2_5
.LBB2_2:                                ;   in Loop: Header=BB2_5 Depth=1
	v_mov_b32_e32 v15, s17
	v_add_co_u32_e32 v14, vcc, s16, v8
	v_addc_co_u32_e32 v15, vcc, v15, v9, vcc
	global_load_dword v14, v[14:15], off
.LBB2_3:                                ;   in Loop: Header=BB2_5 Depth=1
	v_add_co_u32_e32 v8, vcc, v2, v8
	v_addc_co_u32_e32 v9, vcc, v3, v9, vcc
	global_load_dword v8, v[8:9], off
	s_waitcnt vmcnt(1)
	v_add_f32_e32 v1, v14, v1
	s_waitcnt vmcnt(0)
	v_fma_f32 v13, -v14, v8, v13
	ds_write_b32 v11, v13
	ds_write_b32 v10, v1
.LBB2_4:                                ;   in Loop: Header=BB2_5 Depth=1
	s_or_b64 exec, exec, s[2:3]
	v_add_co_u32_e32 v6, vcc, 0x100, v6
	v_addc_co_u32_e32 v7, vcc, 0, v7, vcc
	v_add_co_u32_e32 v2, vcc, s14, v2
	v_addc_co_u32_e32 v3, vcc, v3, v12, vcc
	v_add_co_u32_e32 v4, vcc, 0x400, v4
	v_cmp_le_i64_e64 s[2:3], s[12:13], v[6:7]
	s_or_b64 s[20:21], s[2:3], s[20:21]
	v_addc_co_u32_e32 v5, vcc, 0, v5, vcc
	s_andn2_b64 exec, exec, s[20:21]
	s_cbranch_execz .LBB2_8
.LBB2_5:                                ; =>This Inner Loop Header: Depth=1
	global_load_dword v8, v[4:5], off
	s_waitcnt vmcnt(0)
	v_ashrrev_i32_e32 v9, 31, v8
	v_cmp_ne_u64_e32 vcc, s[18:19], v[8:9]
	s_and_saveexec_b64 s[2:3], vcc
	s_cbranch_execz .LBB2_4
; %bb.6:                                ;   in Loop: Header=BB2_5 Depth=1
	s_and_b64 vcc, exec, s[0:1]
	v_lshlrev_b64 v[8:9], 2, v[8:9]
	s_cbranch_vccz .LBB2_2
; %bb.7:                                ;   in Loop: Header=BB2_5 Depth=1
	v_mov_b32_e32 v14, 1.0
	s_branch .LBB2_3
.LBB2_8:
	s_or_b64 exec, exec, s[6:7]
; %bb.9:
	v_cmp_eq_u32_e32 vcc, 0, v0
	s_waitcnt lgkmcnt(0)
	s_barrier
	s_and_saveexec_b64 s[0:1], vcc
	s_cbranch_execz .LBB2_13
; %bb.10:
	v_mov_b32_e32 v0, 0
	s_mov_b32 s0, 0
	v_mov_b32_e32 v1, v0
.LBB2_11:                               ; =>This Inner Loop Header: Depth=1
	v_mov_b32_e32 v30, s0
	ds_read_b128 v[2:5], v30
	ds_read_b128 v[6:9], v30 offset:16
	ds_read_b128 v[10:13], v30 offset:32
	;; [unrolled: 1-line block ×7, first 2 shown]
	s_waitcnt lgkmcnt(7)
	v_mov_b32_e32 v34, v2
	s_waitcnt lgkmcnt(3)
	v_mov_b32_e32 v35, v18
	v_mov_b32_e32 v18, v3
	v_pk_add_f32 v[0:1], v[0:1], v[34:35]
	v_mov_b32_e32 v2, v4
	v_mov_b32_e32 v3, v20
	v_pk_add_f32 v[0:1], v[0:1], v[18:19]
	v_mov_b32_e32 v20, v5
	v_pk_add_f32 v[0:1], v[0:1], v[2:3]
	v_mov_b32_e32 v4, v6
	s_waitcnt lgkmcnt(2)
	v_mov_b32_e32 v5, v22
	v_pk_add_f32 v[0:1], v[0:1], v[20:21]
	v_mov_b32_e32 v22, v7
	v_pk_add_f32 v[0:1], v[0:1], v[4:5]
	v_mov_b32_e32 v6, v8
	v_mov_b32_e32 v7, v24
	v_pk_add_f32 v[0:1], v[0:1], v[22:23]
	v_mov_b32_e32 v24, v9
	v_pk_add_f32 v[0:1], v[0:1], v[6:7]
	v_mov_b32_e32 v8, v10
	s_waitcnt lgkmcnt(1)
	v_mov_b32_e32 v9, v26
	v_pk_add_f32 v[0:1], v[0:1], v[24:25]
	;; [unrolled: 11-line block ×3, first 2 shown]
	v_mov_b32_e32 v30, v15
	v_pk_add_f32 v[0:1], v[0:1], v[12:13]
	v_mov_b32_e32 v14, v16
	v_mov_b32_e32 v15, v32
	v_pk_add_f32 v[0:1], v[0:1], v[30:31]
	s_add_i32 s0, s0, 64
	v_mov_b32_e32 v32, v17
	v_pk_add_f32 v[0:1], v[0:1], v[14:15]
	s_cmpk_eq_i32 s0, 0x400
	v_pk_add_f32 v[0:1], v[0:1], v[32:33]
	s_cbranch_scc0 .LBB2_11
; %bb.12:
	v_div_scale_f32 v2, s[0:1], v0, v0, v1
	v_rcp_f32_e32 v3, v2
	s_load_dword s2, s[4:5], 0x28
	v_mov_b32_e32 v4, 0
	global_store_dword v4, v0, s[10:11]
	v_fma_f32 v5, -v2, v3, 1.0
	v_fmac_f32_e32 v3, v5, v3
	v_div_scale_f32 v5, vcc, v1, v0, v1
	v_mul_f32_e32 v6, v5, v3
	v_fma_f32 v7, -v2, v6, v5
	v_fmac_f32_e32 v6, v7, v3
	v_fma_f32 v2, -v2, v6, v5
	s_waitcnt lgkmcnt(0)
	s_bitcmp1_b32 s2, 0
	v_div_fmas_f32 v2, v2, v3, v6
	v_div_fixup_f32 v0, v2, v0, v1
	s_cselect_b64 vcc, -1, 0
	v_cndmask_b32_e32 v0, v1, v0, vcc
	global_store_dword v4, v0, s[8:9]
.LBB2_13:
	s_endpgm
	.section	.rodata,"a",@progbits
	.p2align	6, 0x0
	.amdhsa_kernel _Z32nll_loss_forward_reduce2d_kernelIffiLi256EEvPT_S1_PKS0_PKT1_S3_blll
		.amdhsa_group_segment_fixed_size 2048
		.amdhsa_private_segment_fixed_size 0
		.amdhsa_kernarg_size 72
		.amdhsa_user_sgpr_count 6
		.amdhsa_user_sgpr_private_segment_buffer 1
		.amdhsa_user_sgpr_dispatch_ptr 0
		.amdhsa_user_sgpr_queue_ptr 0
		.amdhsa_user_sgpr_kernarg_segment_ptr 1
		.amdhsa_user_sgpr_dispatch_id 0
		.amdhsa_user_sgpr_flat_scratch_init 0
		.amdhsa_user_sgpr_kernarg_preload_length 0
		.amdhsa_user_sgpr_kernarg_preload_offset 0
		.amdhsa_user_sgpr_private_segment_size 0
		.amdhsa_uses_dynamic_stack 0
		.amdhsa_system_sgpr_private_segment_wavefront_offset 0
		.amdhsa_system_sgpr_workgroup_id_x 1
		.amdhsa_system_sgpr_workgroup_id_y 0
		.amdhsa_system_sgpr_workgroup_id_z 0
		.amdhsa_system_sgpr_workgroup_info 0
		.amdhsa_system_vgpr_workitem_id 0
		.amdhsa_next_free_vgpr 36
		.amdhsa_next_free_sgpr 26
		.amdhsa_accum_offset 36
		.amdhsa_reserve_vcc 1
		.amdhsa_reserve_flat_scratch 0
		.amdhsa_float_round_mode_32 0
		.amdhsa_float_round_mode_16_64 0
		.amdhsa_float_denorm_mode_32 3
		.amdhsa_float_denorm_mode_16_64 3
		.amdhsa_dx10_clamp 1
		.amdhsa_ieee_mode 1
		.amdhsa_fp16_overflow 0
		.amdhsa_tg_split 0
		.amdhsa_exception_fp_ieee_invalid_op 0
		.amdhsa_exception_fp_denorm_src 0
		.amdhsa_exception_fp_ieee_div_zero 0
		.amdhsa_exception_fp_ieee_overflow 0
		.amdhsa_exception_fp_ieee_underflow 0
		.amdhsa_exception_fp_ieee_inexact 0
		.amdhsa_exception_int_div_zero 0
	.end_amdhsa_kernel
	.section	.text._Z32nll_loss_forward_reduce2d_kernelIffiLi256EEvPT_S1_PKS0_PKT1_S3_blll,"axG",@progbits,_Z32nll_loss_forward_reduce2d_kernelIffiLi256EEvPT_S1_PKS0_PKT1_S3_blll,comdat
.Lfunc_end2:
	.size	_Z32nll_loss_forward_reduce2d_kernelIffiLi256EEvPT_S1_PKS0_PKT1_S3_blll, .Lfunc_end2-_Z32nll_loss_forward_reduce2d_kernelIffiLi256EEvPT_S1_PKS0_PKT1_S3_blll
                                        ; -- End function
	.section	.AMDGPU.csdata,"",@progbits
; Kernel info:
; codeLenInByte = 856
; NumSgprs: 30
; NumVgprs: 36
; NumAgprs: 0
; TotalNumVgprs: 36
; ScratchSize: 0
; MemoryBound: 0
; FloatMode: 240
; IeeeMode: 1
; LDSByteSize: 2048 bytes/workgroup (compile time only)
; SGPRBlocks: 3
; VGPRBlocks: 4
; NumSGPRsForWavesPerEU: 30
; NumVGPRsForWavesPerEU: 36
; AccumOffset: 36
; Occupancy: 8
; WaveLimiterHint : 1
; COMPUTE_PGM_RSRC2:SCRATCH_EN: 0
; COMPUTE_PGM_RSRC2:USER_SGPR: 6
; COMPUTE_PGM_RSRC2:TRAP_HANDLER: 0
; COMPUTE_PGM_RSRC2:TGID_X_EN: 1
; COMPUTE_PGM_RSRC2:TGID_Y_EN: 0
; COMPUTE_PGM_RSRC2:TGID_Z_EN: 0
; COMPUTE_PGM_RSRC2:TIDIG_COMP_CNT: 0
; COMPUTE_PGM_RSRC3_GFX90A:ACCUM_OFFSET: 8
; COMPUTE_PGM_RSRC3_GFX90A:TG_SPLIT: 0
	.section	.text._Z32nll_loss_forward_reduce2d_kernelIffiLi512EEvPT_S1_PKS0_PKT1_S3_blll,"axG",@progbits,_Z32nll_loss_forward_reduce2d_kernelIffiLi512EEvPT_S1_PKS0_PKT1_S3_blll,comdat
	.protected	_Z32nll_loss_forward_reduce2d_kernelIffiLi512EEvPT_S1_PKS0_PKT1_S3_blll ; -- Begin function _Z32nll_loss_forward_reduce2d_kernelIffiLi512EEvPT_S1_PKS0_PKT1_S3_blll
	.globl	_Z32nll_loss_forward_reduce2d_kernelIffiLi512EEvPT_S1_PKS0_PKT1_S3_blll
	.p2align	8
	.type	_Z32nll_loss_forward_reduce2d_kernelIffiLi512EEvPT_S1_PKS0_PKT1_S3_blll,@function
_Z32nll_loss_forward_reduce2d_kernelIffiLi512EEvPT_S1_PKS0_PKT1_S3_blll: ; @_Z32nll_loss_forward_reduce2d_kernelIffiLi512EEvPT_S1_PKS0_PKT1_S3_blll
; %bb.0:
	s_load_dwordx4 s[12:15], s[4:5], 0x30
	s_load_dwordx4 s[8:11], s[4:5], 0x0
	v_mov_b32_e32 v1, 0
	v_lshlrev_b32_e32 v10, 2, v0
	ds_write2st64_b32 v10, v1, v1 offset1:8
	s_waitcnt lgkmcnt(0)
	v_cmp_gt_i64_e32 vcc, s[12:13], v[0:1]
	s_and_saveexec_b64 s[6:7], vcc
	s_cbranch_execz .LBB3_8
; %bb.1:
	v_mad_u64_u32 v[2:3], s[24:25], s14, v0, 0
	s_load_dwordx2 s[16:17], s[4:5], 0x20
	s_load_dwordx4 s[0:3], s[4:5], 0x10
	s_load_dwordx2 s[18:19], s[4:5], 0x40
	v_mov_b32_e32 v4, v3
	v_mad_u64_u32 v[4:5], s[24:25], s15, v0, v[4:5]
	v_mov_b32_e32 v3, v4
	v_lshlrev_b64 v[2:3], 2, v[2:3]
	s_waitcnt lgkmcnt(0)
	s_cmp_lg_u64 s[16:17], 0
	v_mov_b32_e32 v4, s1
	v_add_co_u32_e32 v2, vcc, s0, v2
	s_cselect_b64 s[22:23], -1, 0
	v_addc_co_u32_e32 v3, vcc, v4, v3, vcc
	v_lshlrev_b32_e32 v4, 2, v0
	s_lshl_b64 s[14:15], s[14:15], 11
	v_mov_b32_e32 v5, s3
	v_add_co_u32_e32 v4, vcc, s2, v4
	v_cndmask_b32_e64 v6, 0, 1, s[22:23]
	v_add_u32_e32 v11, 0x800, v10
	s_mov_b64 s[20:21], 0
	v_addc_co_u32_e32 v5, vcc, 0, v5, vcc
	v_cmp_ne_u32_e64 s[0:1], 1, v6
	v_mov_b32_e32 v12, s15
	v_mov_b32_e32 v13, v1
	v_pk_mov_b32 v[6:7], v[0:1], v[0:1] op_sel:[0,1]
	s_branch .LBB3_5
.LBB3_2:                                ;   in Loop: Header=BB3_5 Depth=1
	v_mov_b32_e32 v15, s17
	v_add_co_u32_e32 v14, vcc, s16, v8
	v_addc_co_u32_e32 v15, vcc, v15, v9, vcc
	global_load_dword v14, v[14:15], off
.LBB3_3:                                ;   in Loop: Header=BB3_5 Depth=1
	v_add_co_u32_e32 v8, vcc, v2, v8
	v_addc_co_u32_e32 v9, vcc, v3, v9, vcc
	global_load_dword v8, v[8:9], off
	s_waitcnt vmcnt(1)
	v_add_f32_e32 v1, v14, v1
	s_waitcnt vmcnt(0)
	v_fma_f32 v13, -v14, v8, v13
	ds_write_b32 v11, v13
	ds_write_b32 v10, v1
.LBB3_4:                                ;   in Loop: Header=BB3_5 Depth=1
	s_or_b64 exec, exec, s[2:3]
	v_add_co_u32_e32 v6, vcc, 0x200, v6
	v_addc_co_u32_e32 v7, vcc, 0, v7, vcc
	v_add_co_u32_e32 v2, vcc, s14, v2
	v_addc_co_u32_e32 v3, vcc, v3, v12, vcc
	v_add_co_u32_e32 v4, vcc, 0x800, v4
	v_cmp_le_i64_e64 s[2:3], s[12:13], v[6:7]
	s_or_b64 s[20:21], s[2:3], s[20:21]
	v_addc_co_u32_e32 v5, vcc, 0, v5, vcc
	s_andn2_b64 exec, exec, s[20:21]
	s_cbranch_execz .LBB3_8
.LBB3_5:                                ; =>This Inner Loop Header: Depth=1
	global_load_dword v8, v[4:5], off
	s_waitcnt vmcnt(0)
	v_ashrrev_i32_e32 v9, 31, v8
	v_cmp_ne_u64_e32 vcc, s[18:19], v[8:9]
	s_and_saveexec_b64 s[2:3], vcc
	s_cbranch_execz .LBB3_4
; %bb.6:                                ;   in Loop: Header=BB3_5 Depth=1
	s_and_b64 vcc, exec, s[0:1]
	v_lshlrev_b64 v[8:9], 2, v[8:9]
	s_cbranch_vccz .LBB3_2
; %bb.7:                                ;   in Loop: Header=BB3_5 Depth=1
	v_mov_b32_e32 v14, 1.0
	s_branch .LBB3_3
.LBB3_8:
	s_or_b64 exec, exec, s[6:7]
; %bb.9:
	v_cmp_eq_u32_e32 vcc, 0, v0
	s_waitcnt lgkmcnt(0)
	s_barrier
	s_and_saveexec_b64 s[0:1], vcc
	s_cbranch_execz .LBB3_13
; %bb.10:
	v_mov_b32_e32 v0, 0
	s_mov_b32 s0, 0
	v_mov_b32_e32 v1, v0
.LBB3_11:                               ; =>This Inner Loop Header: Depth=1
	v_mov_b32_e32 v30, s0
	ds_read_b128 v[2:5], v30
	ds_read_b128 v[6:9], v30 offset:16
	ds_read_b128 v[10:13], v30 offset:32
	;; [unrolled: 1-line block ×7, first 2 shown]
	s_waitcnt lgkmcnt(7)
	v_mov_b32_e32 v34, v2
	s_waitcnt lgkmcnt(3)
	v_mov_b32_e32 v35, v18
	v_mov_b32_e32 v18, v3
	v_pk_add_f32 v[0:1], v[0:1], v[34:35]
	v_mov_b32_e32 v2, v4
	v_mov_b32_e32 v3, v20
	v_pk_add_f32 v[0:1], v[0:1], v[18:19]
	v_mov_b32_e32 v20, v5
	v_pk_add_f32 v[0:1], v[0:1], v[2:3]
	v_mov_b32_e32 v4, v6
	s_waitcnt lgkmcnt(2)
	v_mov_b32_e32 v5, v22
	v_pk_add_f32 v[0:1], v[0:1], v[20:21]
	v_mov_b32_e32 v22, v7
	v_pk_add_f32 v[0:1], v[0:1], v[4:5]
	v_mov_b32_e32 v6, v8
	v_mov_b32_e32 v7, v24
	v_pk_add_f32 v[0:1], v[0:1], v[22:23]
	v_mov_b32_e32 v24, v9
	v_pk_add_f32 v[0:1], v[0:1], v[6:7]
	v_mov_b32_e32 v8, v10
	s_waitcnt lgkmcnt(1)
	v_mov_b32_e32 v9, v26
	v_pk_add_f32 v[0:1], v[0:1], v[24:25]
	;; [unrolled: 11-line block ×3, first 2 shown]
	v_mov_b32_e32 v30, v15
	v_pk_add_f32 v[0:1], v[0:1], v[12:13]
	v_mov_b32_e32 v14, v16
	v_mov_b32_e32 v15, v32
	v_pk_add_f32 v[0:1], v[0:1], v[30:31]
	s_add_i32 s0, s0, 64
	v_mov_b32_e32 v32, v17
	v_pk_add_f32 v[0:1], v[0:1], v[14:15]
	s_cmpk_eq_i32 s0, 0x800
	v_pk_add_f32 v[0:1], v[0:1], v[32:33]
	s_cbranch_scc0 .LBB3_11
; %bb.12:
	v_div_scale_f32 v2, s[0:1], v0, v0, v1
	v_rcp_f32_e32 v3, v2
	s_load_dword s2, s[4:5], 0x28
	v_mov_b32_e32 v4, 0
	global_store_dword v4, v0, s[10:11]
	v_fma_f32 v5, -v2, v3, 1.0
	v_fmac_f32_e32 v3, v5, v3
	v_div_scale_f32 v5, vcc, v1, v0, v1
	v_mul_f32_e32 v6, v5, v3
	v_fma_f32 v7, -v2, v6, v5
	v_fmac_f32_e32 v6, v7, v3
	v_fma_f32 v2, -v2, v6, v5
	s_waitcnt lgkmcnt(0)
	s_bitcmp1_b32 s2, 0
	v_div_fmas_f32 v2, v2, v3, v6
	v_div_fixup_f32 v0, v2, v0, v1
	s_cselect_b64 vcc, -1, 0
	v_cndmask_b32_e32 v0, v1, v0, vcc
	global_store_dword v4, v0, s[8:9]
.LBB3_13:
	s_endpgm
	.section	.rodata,"a",@progbits
	.p2align	6, 0x0
	.amdhsa_kernel _Z32nll_loss_forward_reduce2d_kernelIffiLi512EEvPT_S1_PKS0_PKT1_S3_blll
		.amdhsa_group_segment_fixed_size 4096
		.amdhsa_private_segment_fixed_size 0
		.amdhsa_kernarg_size 72
		.amdhsa_user_sgpr_count 6
		.amdhsa_user_sgpr_private_segment_buffer 1
		.amdhsa_user_sgpr_dispatch_ptr 0
		.amdhsa_user_sgpr_queue_ptr 0
		.amdhsa_user_sgpr_kernarg_segment_ptr 1
		.amdhsa_user_sgpr_dispatch_id 0
		.amdhsa_user_sgpr_flat_scratch_init 0
		.amdhsa_user_sgpr_kernarg_preload_length 0
		.amdhsa_user_sgpr_kernarg_preload_offset 0
		.amdhsa_user_sgpr_private_segment_size 0
		.amdhsa_uses_dynamic_stack 0
		.amdhsa_system_sgpr_private_segment_wavefront_offset 0
		.amdhsa_system_sgpr_workgroup_id_x 1
		.amdhsa_system_sgpr_workgroup_id_y 0
		.amdhsa_system_sgpr_workgroup_id_z 0
		.amdhsa_system_sgpr_workgroup_info 0
		.amdhsa_system_vgpr_workitem_id 0
		.amdhsa_next_free_vgpr 36
		.amdhsa_next_free_sgpr 26
		.amdhsa_accum_offset 36
		.amdhsa_reserve_vcc 1
		.amdhsa_reserve_flat_scratch 0
		.amdhsa_float_round_mode_32 0
		.amdhsa_float_round_mode_16_64 0
		.amdhsa_float_denorm_mode_32 3
		.amdhsa_float_denorm_mode_16_64 3
		.amdhsa_dx10_clamp 1
		.amdhsa_ieee_mode 1
		.amdhsa_fp16_overflow 0
		.amdhsa_tg_split 0
		.amdhsa_exception_fp_ieee_invalid_op 0
		.amdhsa_exception_fp_denorm_src 0
		.amdhsa_exception_fp_ieee_div_zero 0
		.amdhsa_exception_fp_ieee_overflow 0
		.amdhsa_exception_fp_ieee_underflow 0
		.amdhsa_exception_fp_ieee_inexact 0
		.amdhsa_exception_int_div_zero 0
	.end_amdhsa_kernel
	.section	.text._Z32nll_loss_forward_reduce2d_kernelIffiLi512EEvPT_S1_PKS0_PKT1_S3_blll,"axG",@progbits,_Z32nll_loss_forward_reduce2d_kernelIffiLi512EEvPT_S1_PKS0_PKT1_S3_blll,comdat
.Lfunc_end3:
	.size	_Z32nll_loss_forward_reduce2d_kernelIffiLi512EEvPT_S1_PKS0_PKT1_S3_blll, .Lfunc_end3-_Z32nll_loss_forward_reduce2d_kernelIffiLi512EEvPT_S1_PKS0_PKT1_S3_blll
                                        ; -- End function
	.section	.AMDGPU.csdata,"",@progbits
; Kernel info:
; codeLenInByte = 856
; NumSgprs: 30
; NumVgprs: 36
; NumAgprs: 0
; TotalNumVgprs: 36
; ScratchSize: 0
; MemoryBound: 0
; FloatMode: 240
; IeeeMode: 1
; LDSByteSize: 4096 bytes/workgroup (compile time only)
; SGPRBlocks: 3
; VGPRBlocks: 4
; NumSGPRsForWavesPerEU: 30
; NumVGPRsForWavesPerEU: 36
; AccumOffset: 36
; Occupancy: 8
; WaveLimiterHint : 1
; COMPUTE_PGM_RSRC2:SCRATCH_EN: 0
; COMPUTE_PGM_RSRC2:USER_SGPR: 6
; COMPUTE_PGM_RSRC2:TRAP_HANDLER: 0
; COMPUTE_PGM_RSRC2:TGID_X_EN: 1
; COMPUTE_PGM_RSRC2:TGID_Y_EN: 0
; COMPUTE_PGM_RSRC2:TGID_Z_EN: 0
; COMPUTE_PGM_RSRC2:TIDIG_COMP_CNT: 0
; COMPUTE_PGM_RSRC3_GFX90A:ACCUM_OFFSET: 8
; COMPUTE_PGM_RSRC3_GFX90A:TG_SPLIT: 0
	.section	.text._Z32nll_loss_forward_reduce2d_kernelIffiLi1024EEvPT_S1_PKS0_PKT1_S3_blll,"axG",@progbits,_Z32nll_loss_forward_reduce2d_kernelIffiLi1024EEvPT_S1_PKS0_PKT1_S3_blll,comdat
	.protected	_Z32nll_loss_forward_reduce2d_kernelIffiLi1024EEvPT_S1_PKS0_PKT1_S3_blll ; -- Begin function _Z32nll_loss_forward_reduce2d_kernelIffiLi1024EEvPT_S1_PKS0_PKT1_S3_blll
	.globl	_Z32nll_loss_forward_reduce2d_kernelIffiLi1024EEvPT_S1_PKS0_PKT1_S3_blll
	.p2align	8
	.type	_Z32nll_loss_forward_reduce2d_kernelIffiLi1024EEvPT_S1_PKS0_PKT1_S3_blll,@function
_Z32nll_loss_forward_reduce2d_kernelIffiLi1024EEvPT_S1_PKS0_PKT1_S3_blll: ; @_Z32nll_loss_forward_reduce2d_kernelIffiLi1024EEvPT_S1_PKS0_PKT1_S3_blll
; %bb.0:
	s_load_dwordx4 s[12:15], s[4:5], 0x30
	s_load_dwordx4 s[8:11], s[4:5], 0x0
	v_mov_b32_e32 v1, 0
	v_lshlrev_b32_e32 v10, 2, v0
	ds_write2st64_b32 v10, v1, v1 offset1:16
	s_waitcnt lgkmcnt(0)
	v_cmp_gt_i64_e32 vcc, s[12:13], v[0:1]
	s_and_saveexec_b64 s[6:7], vcc
	s_cbranch_execz .LBB4_8
; %bb.1:
	v_mad_u64_u32 v[2:3], s[24:25], s14, v0, 0
	s_load_dwordx2 s[16:17], s[4:5], 0x20
	s_load_dwordx4 s[0:3], s[4:5], 0x10
	s_load_dwordx2 s[18:19], s[4:5], 0x40
	v_mov_b32_e32 v4, v3
	v_mad_u64_u32 v[4:5], s[24:25], s15, v0, v[4:5]
	v_mov_b32_e32 v3, v4
	v_lshlrev_b64 v[2:3], 2, v[2:3]
	s_waitcnt lgkmcnt(0)
	s_cmp_lg_u64 s[16:17], 0
	v_mov_b32_e32 v4, s1
	v_add_co_u32_e32 v2, vcc, s0, v2
	s_cselect_b64 s[22:23], -1, 0
	v_addc_co_u32_e32 v3, vcc, v4, v3, vcc
	v_lshlrev_b32_e32 v4, 2, v0
	s_lshl_b64 s[14:15], s[14:15], 12
	v_mov_b32_e32 v5, s3
	v_add_co_u32_e32 v4, vcc, s2, v4
	v_cndmask_b32_e64 v6, 0, 1, s[22:23]
	v_or_b32_e32 v11, 0x1000, v10
	s_mov_b64 s[20:21], 0
	v_addc_co_u32_e32 v5, vcc, 0, v5, vcc
	v_cmp_ne_u32_e64 s[0:1], 1, v6
	v_mov_b32_e32 v12, s15
	v_mov_b32_e32 v13, v1
	v_pk_mov_b32 v[6:7], v[0:1], v[0:1] op_sel:[0,1]
	s_branch .LBB4_5
.LBB4_2:                                ;   in Loop: Header=BB4_5 Depth=1
	v_mov_b32_e32 v15, s17
	v_add_co_u32_e32 v14, vcc, s16, v8
	v_addc_co_u32_e32 v15, vcc, v15, v9, vcc
	global_load_dword v14, v[14:15], off
.LBB4_3:                                ;   in Loop: Header=BB4_5 Depth=1
	v_add_co_u32_e32 v8, vcc, v2, v8
	v_addc_co_u32_e32 v9, vcc, v3, v9, vcc
	global_load_dword v8, v[8:9], off
	s_waitcnt vmcnt(1)
	v_add_f32_e32 v1, v14, v1
	s_waitcnt vmcnt(0)
	v_fma_f32 v13, -v14, v8, v13
	ds_write_b32 v11, v13
	ds_write_b32 v10, v1
.LBB4_4:                                ;   in Loop: Header=BB4_5 Depth=1
	s_or_b64 exec, exec, s[2:3]
	v_add_co_u32_e32 v6, vcc, 0x400, v6
	v_addc_co_u32_e32 v7, vcc, 0, v7, vcc
	v_add_co_u32_e32 v2, vcc, s14, v2
	v_addc_co_u32_e32 v3, vcc, v3, v12, vcc
	v_add_co_u32_e32 v4, vcc, 0x1000, v4
	v_cmp_le_i64_e64 s[2:3], s[12:13], v[6:7]
	s_or_b64 s[20:21], s[2:3], s[20:21]
	v_addc_co_u32_e32 v5, vcc, 0, v5, vcc
	s_andn2_b64 exec, exec, s[20:21]
	s_cbranch_execz .LBB4_8
.LBB4_5:                                ; =>This Inner Loop Header: Depth=1
	global_load_dword v8, v[4:5], off
	s_waitcnt vmcnt(0)
	v_ashrrev_i32_e32 v9, 31, v8
	v_cmp_ne_u64_e32 vcc, s[18:19], v[8:9]
	s_and_saveexec_b64 s[2:3], vcc
	s_cbranch_execz .LBB4_4
; %bb.6:                                ;   in Loop: Header=BB4_5 Depth=1
	s_and_b64 vcc, exec, s[0:1]
	v_lshlrev_b64 v[8:9], 2, v[8:9]
	s_cbranch_vccz .LBB4_2
; %bb.7:                                ;   in Loop: Header=BB4_5 Depth=1
	v_mov_b32_e32 v14, 1.0
	s_branch .LBB4_3
.LBB4_8:
	s_or_b64 exec, exec, s[6:7]
; %bb.9:
	v_cmp_eq_u32_e32 vcc, 0, v0
	s_waitcnt lgkmcnt(0)
	s_barrier
	s_and_saveexec_b64 s[0:1], vcc
	s_cbranch_execz .LBB4_13
; %bb.10:
	v_mov_b32_e32 v0, 0
	s_mov_b32 s0, 0
	v_mov_b32_e32 v1, v0
.LBB4_11:                               ; =>This Inner Loop Header: Depth=1
	v_mov_b32_e32 v30, s0
	ds_read_b128 v[2:5], v30
	ds_read_b128 v[6:9], v30 offset:16
	ds_read_b128 v[10:13], v30 offset:32
	ds_read_b128 v[14:17], v30 offset:48
	ds_read_b128 v[18:21], v30 offset:4096
	ds_read_b128 v[22:25], v30 offset:4112
	ds_read_b128 v[26:29], v30 offset:4128
	ds_read_b128 v[30:33], v30 offset:4144
	s_waitcnt lgkmcnt(7)
	v_mov_b32_e32 v34, v2
	s_waitcnt lgkmcnt(3)
	v_mov_b32_e32 v35, v18
	v_mov_b32_e32 v18, v3
	v_pk_add_f32 v[0:1], v[0:1], v[34:35]
	v_mov_b32_e32 v2, v4
	v_mov_b32_e32 v3, v20
	v_pk_add_f32 v[0:1], v[0:1], v[18:19]
	v_mov_b32_e32 v20, v5
	v_pk_add_f32 v[0:1], v[0:1], v[2:3]
	v_mov_b32_e32 v4, v6
	s_waitcnt lgkmcnt(2)
	v_mov_b32_e32 v5, v22
	v_pk_add_f32 v[0:1], v[0:1], v[20:21]
	v_mov_b32_e32 v22, v7
	v_pk_add_f32 v[0:1], v[0:1], v[4:5]
	v_mov_b32_e32 v6, v8
	v_mov_b32_e32 v7, v24
	v_pk_add_f32 v[0:1], v[0:1], v[22:23]
	v_mov_b32_e32 v24, v9
	v_pk_add_f32 v[0:1], v[0:1], v[6:7]
	v_mov_b32_e32 v8, v10
	s_waitcnt lgkmcnt(1)
	v_mov_b32_e32 v9, v26
	v_pk_add_f32 v[0:1], v[0:1], v[24:25]
	;; [unrolled: 11-line block ×3, first 2 shown]
	v_mov_b32_e32 v30, v15
	v_pk_add_f32 v[0:1], v[0:1], v[12:13]
	v_mov_b32_e32 v14, v16
	v_mov_b32_e32 v15, v32
	v_pk_add_f32 v[0:1], v[0:1], v[30:31]
	s_add_i32 s0, s0, 64
	v_mov_b32_e32 v32, v17
	v_pk_add_f32 v[0:1], v[0:1], v[14:15]
	s_cmpk_eq_i32 s0, 0x1000
	v_pk_add_f32 v[0:1], v[0:1], v[32:33]
	s_cbranch_scc0 .LBB4_11
; %bb.12:
	v_div_scale_f32 v2, s[0:1], v0, v0, v1
	v_rcp_f32_e32 v3, v2
	s_load_dword s2, s[4:5], 0x28
	v_mov_b32_e32 v4, 0
	global_store_dword v4, v0, s[10:11]
	v_fma_f32 v5, -v2, v3, 1.0
	v_fmac_f32_e32 v3, v5, v3
	v_div_scale_f32 v5, vcc, v1, v0, v1
	v_mul_f32_e32 v6, v5, v3
	v_fma_f32 v7, -v2, v6, v5
	v_fmac_f32_e32 v6, v7, v3
	v_fma_f32 v2, -v2, v6, v5
	s_waitcnt lgkmcnt(0)
	s_bitcmp1_b32 s2, 0
	v_div_fmas_f32 v2, v2, v3, v6
	v_div_fixup_f32 v0, v2, v0, v1
	s_cselect_b64 vcc, -1, 0
	v_cndmask_b32_e32 v0, v1, v0, vcc
	global_store_dword v4, v0, s[8:9]
.LBB4_13:
	s_endpgm
	.section	.rodata,"a",@progbits
	.p2align	6, 0x0
	.amdhsa_kernel _Z32nll_loss_forward_reduce2d_kernelIffiLi1024EEvPT_S1_PKS0_PKT1_S3_blll
		.amdhsa_group_segment_fixed_size 8192
		.amdhsa_private_segment_fixed_size 0
		.amdhsa_kernarg_size 72
		.amdhsa_user_sgpr_count 6
		.amdhsa_user_sgpr_private_segment_buffer 1
		.amdhsa_user_sgpr_dispatch_ptr 0
		.amdhsa_user_sgpr_queue_ptr 0
		.amdhsa_user_sgpr_kernarg_segment_ptr 1
		.amdhsa_user_sgpr_dispatch_id 0
		.amdhsa_user_sgpr_flat_scratch_init 0
		.amdhsa_user_sgpr_kernarg_preload_length 0
		.amdhsa_user_sgpr_kernarg_preload_offset 0
		.amdhsa_user_sgpr_private_segment_size 0
		.amdhsa_uses_dynamic_stack 0
		.amdhsa_system_sgpr_private_segment_wavefront_offset 0
		.amdhsa_system_sgpr_workgroup_id_x 1
		.amdhsa_system_sgpr_workgroup_id_y 0
		.amdhsa_system_sgpr_workgroup_id_z 0
		.amdhsa_system_sgpr_workgroup_info 0
		.amdhsa_system_vgpr_workitem_id 0
		.amdhsa_next_free_vgpr 36
		.amdhsa_next_free_sgpr 26
		.amdhsa_accum_offset 36
		.amdhsa_reserve_vcc 1
		.amdhsa_reserve_flat_scratch 0
		.amdhsa_float_round_mode_32 0
		.amdhsa_float_round_mode_16_64 0
		.amdhsa_float_denorm_mode_32 3
		.amdhsa_float_denorm_mode_16_64 3
		.amdhsa_dx10_clamp 1
		.amdhsa_ieee_mode 1
		.amdhsa_fp16_overflow 0
		.amdhsa_tg_split 0
		.amdhsa_exception_fp_ieee_invalid_op 0
		.amdhsa_exception_fp_denorm_src 0
		.amdhsa_exception_fp_ieee_div_zero 0
		.amdhsa_exception_fp_ieee_overflow 0
		.amdhsa_exception_fp_ieee_underflow 0
		.amdhsa_exception_fp_ieee_inexact 0
		.amdhsa_exception_int_div_zero 0
	.end_amdhsa_kernel
	.section	.text._Z32nll_loss_forward_reduce2d_kernelIffiLi1024EEvPT_S1_PKS0_PKT1_S3_blll,"axG",@progbits,_Z32nll_loss_forward_reduce2d_kernelIffiLi1024EEvPT_S1_PKS0_PKT1_S3_blll,comdat
.Lfunc_end4:
	.size	_Z32nll_loss_forward_reduce2d_kernelIffiLi1024EEvPT_S1_PKS0_PKT1_S3_blll, .Lfunc_end4-_Z32nll_loss_forward_reduce2d_kernelIffiLi1024EEvPT_S1_PKS0_PKT1_S3_blll
                                        ; -- End function
	.section	.AMDGPU.csdata,"",@progbits
; Kernel info:
; codeLenInByte = 856
; NumSgprs: 30
; NumVgprs: 36
; NumAgprs: 0
; TotalNumVgprs: 36
; ScratchSize: 0
; MemoryBound: 0
; FloatMode: 240
; IeeeMode: 1
; LDSByteSize: 8192 bytes/workgroup (compile time only)
; SGPRBlocks: 3
; VGPRBlocks: 4
; NumSGPRsForWavesPerEU: 30
; NumVGPRsForWavesPerEU: 36
; AccumOffset: 36
; Occupancy: 8
; WaveLimiterHint : 1
; COMPUTE_PGM_RSRC2:SCRATCH_EN: 0
; COMPUTE_PGM_RSRC2:USER_SGPR: 6
; COMPUTE_PGM_RSRC2:TRAP_HANDLER: 0
; COMPUTE_PGM_RSRC2:TGID_X_EN: 1
; COMPUTE_PGM_RSRC2:TGID_Y_EN: 0
; COMPUTE_PGM_RSRC2:TGID_Z_EN: 0
; COMPUTE_PGM_RSRC2:TIDIG_COMP_CNT: 0
; COMPUTE_PGM_RSRC3_GFX90A:ACCUM_OFFSET: 8
; COMPUTE_PGM_RSRC3_GFX90A:TG_SPLIT: 0
	.section	.text._Z32nll_loss_forward_reduce2d_kernelI6__halfS0_iLi64EEvPT_S2_PKS1_PKT1_S4_blll,"axG",@progbits,_Z32nll_loss_forward_reduce2d_kernelI6__halfS0_iLi64EEvPT_S2_PKS1_PKT1_S4_blll,comdat
	.protected	_Z32nll_loss_forward_reduce2d_kernelI6__halfS0_iLi64EEvPT_S2_PKS1_PKT1_S4_blll ; -- Begin function _Z32nll_loss_forward_reduce2d_kernelI6__halfS0_iLi64EEvPT_S2_PKS1_PKT1_S4_blll
	.globl	_Z32nll_loss_forward_reduce2d_kernelI6__halfS0_iLi64EEvPT_S2_PKS1_PKT1_S4_blll
	.p2align	8
	.type	_Z32nll_loss_forward_reduce2d_kernelI6__halfS0_iLi64EEvPT_S2_PKS1_PKT1_S4_blll,@function
_Z32nll_loss_forward_reduce2d_kernelI6__halfS0_iLi64EEvPT_S2_PKS1_PKT1_S4_blll: ; @_Z32nll_loss_forward_reduce2d_kernelI6__halfS0_iLi64EEvPT_S2_PKS1_PKT1_S4_blll
; %bb.0:
	s_load_dwordx4 s[8:11], s[4:5], 0x0
	s_load_dwordx4 s[12:15], s[4:5], 0x30
	v_mov_b32_e32 v1, 0
	v_lshlrev_b32_e32 v10, 1, v0
	ds_write_b16 v10, v1 offset:128
	ds_write_b16 v10, v1
	s_waitcnt lgkmcnt(0)
	v_cmp_gt_i64_e32 vcc, s[12:13], v[0:1]
	s_and_saveexec_b64 s[6:7], vcc
	s_cbranch_execz .LBB5_8
; %bb.1:
	v_mad_u64_u32 v[2:3], s[24:25], s14, v0, 0
	s_load_dwordx2 s[16:17], s[4:5], 0x20
	s_load_dwordx4 s[0:3], s[4:5], 0x10
	s_load_dwordx2 s[18:19], s[4:5], 0x40
	v_mov_b32_e32 v4, v3
	v_mad_u64_u32 v[4:5], s[24:25], s15, v0, v[4:5]
	v_mov_b32_e32 v3, v4
	v_lshlrev_b64 v[2:3], 1, v[2:3]
	s_waitcnt lgkmcnt(0)
	s_cmp_lg_u64 s[16:17], 0
	v_mov_b32_e32 v4, s1
	v_add_co_u32_e32 v2, vcc, s0, v2
	s_cselect_b64 s[22:23], -1, 0
	v_addc_co_u32_e32 v3, vcc, v4, v3, vcc
	v_lshlrev_b32_e32 v4, 2, v0
	s_lshl_b64 s[14:15], s[14:15], 7
	v_mov_b32_e32 v5, s3
	v_add_co_u32_e32 v4, vcc, s2, v4
	v_cndmask_b32_e64 v6, 0, 1, s[22:23]
	v_add_u32_e32 v11, 0x80, v10
	s_mov_b64 s[20:21], 0
	v_addc_co_u32_e32 v5, vcc, 0, v5, vcc
	v_cmp_ne_u32_e64 s[0:1], 1, v6
	v_mov_b32_e32 v12, s15
	v_mov_b32_e32 v13, v1
	v_pk_mov_b32 v[6:7], v[0:1], v[0:1] op_sel:[0,1]
	s_branch .LBB5_5
.LBB5_2:                                ;   in Loop: Header=BB5_5 Depth=1
	v_mov_b32_e32 v15, s17
	v_add_co_u32_e32 v14, vcc, s16, v8
	v_addc_co_u32_e32 v15, vcc, v15, v9, vcc
	global_load_ushort v14, v[14:15], off
.LBB5_3:                                ;   in Loop: Header=BB5_5 Depth=1
	v_add_co_u32_e32 v8, vcc, v2, v8
	v_addc_co_u32_e32 v9, vcc, v3, v9, vcc
	global_load_ushort v8, v[8:9], off
	s_waitcnt vmcnt(1)
	v_add_f16_e32 v1, v14, v1
	s_waitcnt vmcnt(0)
	v_fma_f16 v13, -v14, v8, v13
	ds_write_b16 v11, v13
	ds_write_b16 v10, v1
.LBB5_4:                                ;   in Loop: Header=BB5_5 Depth=1
	s_or_b64 exec, exec, s[2:3]
	v_add_co_u32_e32 v6, vcc, 64, v6
	v_addc_co_u32_e32 v7, vcc, 0, v7, vcc
	v_add_co_u32_e32 v2, vcc, s14, v2
	v_addc_co_u32_e32 v3, vcc, v3, v12, vcc
	v_add_co_u32_e32 v4, vcc, 0x100, v4
	v_cmp_le_i64_e64 s[2:3], s[12:13], v[6:7]
	s_or_b64 s[20:21], s[2:3], s[20:21]
	v_addc_co_u32_e32 v5, vcc, 0, v5, vcc
	s_andn2_b64 exec, exec, s[20:21]
	s_cbranch_execz .LBB5_8
.LBB5_5:                                ; =>This Inner Loop Header: Depth=1
	global_load_dword v8, v[4:5], off
	s_waitcnt vmcnt(0)
	v_ashrrev_i32_e32 v9, 31, v8
	v_cmp_ne_u64_e32 vcc, s[18:19], v[8:9]
	s_and_saveexec_b64 s[2:3], vcc
	s_cbranch_execz .LBB5_4
; %bb.6:                                ;   in Loop: Header=BB5_5 Depth=1
	s_and_b64 vcc, exec, s[0:1]
	v_lshlrev_b64 v[8:9], 1, v[8:9]
	s_cbranch_vccz .LBB5_2
; %bb.7:                                ;   in Loop: Header=BB5_5 Depth=1
	v_mov_b32_e32 v14, 0x3c00
	s_branch .LBB5_3
.LBB5_8:
	s_or_b64 exec, exec, s[6:7]
; %bb.9:
	v_cmp_eq_u32_e32 vcc, 0, v0
	s_waitcnt lgkmcnt(0)
	s_barrier
	s_and_saveexec_b64 s[0:1], vcc
	s_cbranch_execz .LBB5_11
; %bb.10:
	v_mov_b32_e32 v24, 0
	ds_read_b128 v[0:3], v24 offset:128
	ds_read_b128 v[4:7], v24
	ds_read_b128 v[8:11], v24 offset:16
	ds_read_b128 v[12:15], v24 offset:144
	;; [unrolled: 1-line block ×4, first 2 shown]
	s_waitcnt lgkmcnt(5)
	v_add_f16_e32 v25, 0, v0
	s_waitcnt lgkmcnt(4)
	v_add_f16_e32 v26, 0, v4
	v_add_f16_sdwa v0, v25, v0 dst_sel:DWORD dst_unused:UNUSED_PAD src0_sel:DWORD src1_sel:WORD_1
	v_add_f16_sdwa v4, v26, v4 dst_sel:DWORD dst_unused:UNUSED_PAD src0_sel:DWORD src1_sel:WORD_1
	v_add_f16_e32 v0, v0, v1
	v_add_f16_e32 v4, v4, v5
	v_add_f16_sdwa v0, v0, v1 dst_sel:DWORD dst_unused:UNUSED_PAD src0_sel:DWORD src1_sel:WORD_1
	v_add_f16_sdwa v1, v4, v5 dst_sel:DWORD dst_unused:UNUSED_PAD src0_sel:DWORD src1_sel:WORD_1
	v_add_f16_e32 v0, v0, v2
	;; [unrolled: 4-line block ×3, first 2 shown]
	v_add_f16_e32 v1, v1, v7
	v_add_f16_sdwa v0, v0, v3 dst_sel:DWORD dst_unused:UNUSED_PAD src0_sel:DWORD src1_sel:WORD_1
	v_add_f16_sdwa v1, v1, v7 dst_sel:DWORD dst_unused:UNUSED_PAD src0_sel:DWORD src1_sel:WORD_1
	s_waitcnt lgkmcnt(2)
	v_add_f16_e32 v0, v0, v12
	v_add_f16_e32 v1, v1, v8
	v_add_f16_sdwa v0, v0, v12 dst_sel:DWORD dst_unused:UNUSED_PAD src0_sel:DWORD src1_sel:WORD_1
	v_add_f16_sdwa v1, v1, v8 dst_sel:DWORD dst_unused:UNUSED_PAD src0_sel:DWORD src1_sel:WORD_1
	v_add_f16_e32 v0, v0, v13
	v_add_f16_e32 v1, v1, v9
	v_add_f16_sdwa v0, v0, v13 dst_sel:DWORD dst_unused:UNUSED_PAD src0_sel:DWORD src1_sel:WORD_1
	v_add_f16_sdwa v1, v1, v9 dst_sel:DWORD dst_unused:UNUSED_PAD src0_sel:DWORD src1_sel:WORD_1
	;; [unrolled: 4-line block ×3, first 2 shown]
	v_add_f16_e32 v5, v0, v15
	ds_read_b128 v[0:3], v24 offset:160
	v_add_f16_e32 v4, v4, v11
	v_add_f16_sdwa v8, v5, v15 dst_sel:DWORD dst_unused:UNUSED_PAD src0_sel:DWORD src1_sel:WORD_1
	v_add_f16_sdwa v9, v4, v11 dst_sel:DWORD dst_unused:UNUSED_PAD src0_sel:DWORD src1_sel:WORD_1
	ds_read_b128 v[4:7], v24 offset:176
	s_waitcnt lgkmcnt(1)
	v_add_f16_e32 v8, v8, v0
	v_add_f16_e32 v9, v9, v16
	v_add_f16_sdwa v0, v8, v0 dst_sel:DWORD dst_unused:UNUSED_PAD src0_sel:DWORD src1_sel:WORD_1
	v_add_f16_sdwa v8, v9, v16 dst_sel:DWORD dst_unused:UNUSED_PAD src0_sel:DWORD src1_sel:WORD_1
	v_add_f16_e32 v0, v0, v1
	v_add_f16_e32 v8, v8, v17
	v_add_f16_sdwa v0, v0, v1 dst_sel:DWORD dst_unused:UNUSED_PAD src0_sel:DWORD src1_sel:WORD_1
	v_add_f16_sdwa v1, v8, v17 dst_sel:DWORD dst_unused:UNUSED_PAD src0_sel:DWORD src1_sel:WORD_1
	v_add_f16_e32 v0, v0, v2
	v_add_f16_e32 v1, v1, v18
	v_add_f16_sdwa v0, v0, v2 dst_sel:DWORD dst_unused:UNUSED_PAD src0_sel:DWORD src1_sel:WORD_1
	v_add_f16_sdwa v1, v1, v18 dst_sel:DWORD dst_unused:UNUSED_PAD src0_sel:DWORD src1_sel:WORD_1
	v_add_f16_e32 v0, v0, v3
	v_add_f16_e32 v1, v1, v19
	v_add_f16_sdwa v0, v0, v3 dst_sel:DWORD dst_unused:UNUSED_PAD src0_sel:DWORD src1_sel:WORD_1
	v_add_f16_sdwa v1, v1, v19 dst_sel:DWORD dst_unused:UNUSED_PAD src0_sel:DWORD src1_sel:WORD_1
	s_waitcnt lgkmcnt(0)
	v_add_f16_e32 v0, v0, v4
	v_add_f16_e32 v1, v1, v20
	v_add_f16_sdwa v0, v0, v4 dst_sel:DWORD dst_unused:UNUSED_PAD src0_sel:DWORD src1_sel:WORD_1
	v_add_f16_sdwa v1, v1, v20 dst_sel:DWORD dst_unused:UNUSED_PAD src0_sel:DWORD src1_sel:WORD_1
	v_add_f16_e32 v0, v0, v5
	v_add_f16_e32 v1, v1, v21
	v_add_f16_sdwa v0, v0, v5 dst_sel:DWORD dst_unused:UNUSED_PAD src0_sel:DWORD src1_sel:WORD_1
	v_add_f16_sdwa v1, v1, v21 dst_sel:DWORD dst_unused:UNUSED_PAD src0_sel:DWORD src1_sel:WORD_1
	;; [unrolled: 4-line block ×3, first 2 shown]
	v_add_f16_e32 v4, v0, v7
	v_add_f16_e32 v8, v1, v23
	ds_read_b128 v[0:3], v24 offset:192
	v_add_f16_sdwa v12, v4, v7 dst_sel:DWORD dst_unused:UNUSED_PAD src0_sel:DWORD src1_sel:WORD_1
	ds_read_b128 v[4:7], v24 offset:64
	v_add_f16_sdwa v16, v8, v23 dst_sel:DWORD dst_unused:UNUSED_PAD src0_sel:DWORD src1_sel:WORD_1
	ds_read_b128 v[8:11], v24 offset:208
	s_waitcnt lgkmcnt(2)
	v_add_f16_e32 v17, v12, v0
	ds_read_b128 v[12:15], v24 offset:80
	s_waitcnt lgkmcnt(2)
	v_add_f16_e32 v16, v16, v4
	v_add_f16_sdwa v0, v17, v0 dst_sel:DWORD dst_unused:UNUSED_PAD src0_sel:DWORD src1_sel:WORD_1
	v_add_f16_sdwa v4, v16, v4 dst_sel:DWORD dst_unused:UNUSED_PAD src0_sel:DWORD src1_sel:WORD_1
	v_add_f16_e32 v0, v0, v1
	v_add_f16_e32 v4, v4, v5
	v_add_f16_sdwa v0, v0, v1 dst_sel:DWORD dst_unused:UNUSED_PAD src0_sel:DWORD src1_sel:WORD_1
	v_add_f16_sdwa v1, v4, v5 dst_sel:DWORD dst_unused:UNUSED_PAD src0_sel:DWORD src1_sel:WORD_1
	v_add_f16_e32 v0, v0, v2
	;; [unrolled: 4-line block ×3, first 2 shown]
	v_add_f16_e32 v1, v1, v7
	v_add_f16_sdwa v0, v0, v3 dst_sel:DWORD dst_unused:UNUSED_PAD src0_sel:DWORD src1_sel:WORD_1
	v_add_f16_sdwa v1, v1, v7 dst_sel:DWORD dst_unused:UNUSED_PAD src0_sel:DWORD src1_sel:WORD_1
	s_waitcnt lgkmcnt(1)
	v_add_f16_e32 v0, v0, v8
	s_waitcnt lgkmcnt(0)
	v_add_f16_e32 v1, v1, v12
	v_add_f16_sdwa v0, v0, v8 dst_sel:DWORD dst_unused:UNUSED_PAD src0_sel:DWORD src1_sel:WORD_1
	v_add_f16_sdwa v1, v1, v12 dst_sel:DWORD dst_unused:UNUSED_PAD src0_sel:DWORD src1_sel:WORD_1
	v_add_f16_e32 v0, v0, v9
	v_add_f16_e32 v1, v1, v13
	v_add_f16_sdwa v0, v0, v9 dst_sel:DWORD dst_unused:UNUSED_PAD src0_sel:DWORD src1_sel:WORD_1
	v_add_f16_sdwa v1, v1, v13 dst_sel:DWORD dst_unused:UNUSED_PAD src0_sel:DWORD src1_sel:WORD_1
	v_add_f16_e32 v0, v0, v10
	;; [unrolled: 4-line block ×3, first 2 shown]
	v_add_f16_e32 v8, v1, v15
	ds_read_b128 v[0:3], v24 offset:224
	v_add_f16_sdwa v12, v4, v11 dst_sel:DWORD dst_unused:UNUSED_PAD src0_sel:DWORD src1_sel:WORD_1
	ds_read_b128 v[4:7], v24 offset:96
	v_add_f16_sdwa v16, v8, v15 dst_sel:DWORD dst_unused:UNUSED_PAD src0_sel:DWORD src1_sel:WORD_1
	ds_read_b128 v[8:11], v24 offset:240
	s_waitcnt lgkmcnt(2)
	v_add_f16_e32 v17, v12, v0
	ds_read_b128 v[12:15], v24 offset:112
	s_waitcnt lgkmcnt(2)
	v_add_f16_e32 v16, v16, v4
	v_add_f16_sdwa v0, v17, v0 dst_sel:DWORD dst_unused:UNUSED_PAD src0_sel:DWORD src1_sel:WORD_1
	v_add_f16_sdwa v4, v16, v4 dst_sel:DWORD dst_unused:UNUSED_PAD src0_sel:DWORD src1_sel:WORD_1
	v_add_f16_e32 v0, v0, v1
	v_add_f16_e32 v4, v4, v5
	v_add_f16_sdwa v0, v0, v1 dst_sel:DWORD dst_unused:UNUSED_PAD src0_sel:DWORD src1_sel:WORD_1
	v_add_f16_sdwa v1, v4, v5 dst_sel:DWORD dst_unused:UNUSED_PAD src0_sel:DWORD src1_sel:WORD_1
	v_add_f16_e32 v1, v1, v6
	v_add_f16_sdwa v1, v1, v6 dst_sel:DWORD dst_unused:UNUSED_PAD src0_sel:DWORD src1_sel:WORD_1
	v_add_f16_e32 v1, v1, v7
	;; [unrolled: 2-line block ×3, first 2 shown]
	s_waitcnt lgkmcnt(0)
	v_add_f16_e32 v1, v1, v12
	v_add_f16_sdwa v0, v0, v2 dst_sel:DWORD dst_unused:UNUSED_PAD src0_sel:DWORD src1_sel:WORD_1
	v_add_f16_sdwa v1, v1, v12 dst_sel:DWORD dst_unused:UNUSED_PAD src0_sel:DWORD src1_sel:WORD_1
	v_add_f16_e32 v0, v0, v3
	v_add_f16_e32 v1, v1, v13
	v_add_f16_sdwa v0, v0, v3 dst_sel:DWORD dst_unused:UNUSED_PAD src0_sel:DWORD src1_sel:WORD_1
	v_add_f16_sdwa v1, v1, v13 dst_sel:DWORD dst_unused:UNUSED_PAD src0_sel:DWORD src1_sel:WORD_1
	v_add_f16_e32 v0, v0, v8
	;; [unrolled: 4-line block ×4, first 2 shown]
	v_cvt_f32_f16_e32 v2, v1
	v_add_f16_sdwa v0, v0, v10 dst_sel:DWORD dst_unused:UNUSED_PAD src0_sel:DWORD src1_sel:WORD_1
	v_add_f16_e32 v0, v0, v11
	v_add_f16_sdwa v0, v0, v11 dst_sel:DWORD dst_unused:UNUSED_PAD src0_sel:DWORD src1_sel:WORD_1
	v_cvt_f32_f16_e32 v3, v0
	v_rcp_f32_e32 v4, v2
	s_load_dword s0, s[4:5], 0x28
	global_store_short v24, v1, s[10:11]
	v_mul_f32_e32 v5, v3, v4
	v_mad_f32 v6, -v2, v5, v3
	v_mac_f32_e32 v5, v6, v4
	v_mad_f32 v2, -v2, v5, v3
	v_mul_f32_e32 v2, v2, v4
	v_and_b32_e32 v2, 0xff800000, v2
	v_add_f32_e32 v2, v2, v5
	v_cvt_f16_f32_e32 v2, v2
	s_waitcnt lgkmcnt(0)
	s_bitcmp1_b32 s0, 0
	s_cselect_b64 vcc, -1, 0
	v_div_fixup_f16 v1, v2, v1, v0
	v_cndmask_b32_e32 v0, v0, v1, vcc
	global_store_short v24, v0, s[8:9]
.LBB5_11:
	s_endpgm
	.section	.rodata,"a",@progbits
	.p2align	6, 0x0
	.amdhsa_kernel _Z32nll_loss_forward_reduce2d_kernelI6__halfS0_iLi64EEvPT_S2_PKS1_PKT1_S4_blll
		.amdhsa_group_segment_fixed_size 256
		.amdhsa_private_segment_fixed_size 0
		.amdhsa_kernarg_size 72
		.amdhsa_user_sgpr_count 6
		.amdhsa_user_sgpr_private_segment_buffer 1
		.amdhsa_user_sgpr_dispatch_ptr 0
		.amdhsa_user_sgpr_queue_ptr 0
		.amdhsa_user_sgpr_kernarg_segment_ptr 1
		.amdhsa_user_sgpr_dispatch_id 0
		.amdhsa_user_sgpr_flat_scratch_init 0
		.amdhsa_user_sgpr_kernarg_preload_length 0
		.amdhsa_user_sgpr_kernarg_preload_offset 0
		.amdhsa_user_sgpr_private_segment_size 0
		.amdhsa_uses_dynamic_stack 0
		.amdhsa_system_sgpr_private_segment_wavefront_offset 0
		.amdhsa_system_sgpr_workgroup_id_x 1
		.amdhsa_system_sgpr_workgroup_id_y 0
		.amdhsa_system_sgpr_workgroup_id_z 0
		.amdhsa_system_sgpr_workgroup_info 0
		.amdhsa_system_vgpr_workitem_id 0
		.amdhsa_next_free_vgpr 27
		.amdhsa_next_free_sgpr 26
		.amdhsa_accum_offset 28
		.amdhsa_reserve_vcc 1
		.amdhsa_reserve_flat_scratch 0
		.amdhsa_float_round_mode_32 0
		.amdhsa_float_round_mode_16_64 0
		.amdhsa_float_denorm_mode_32 3
		.amdhsa_float_denorm_mode_16_64 3
		.amdhsa_dx10_clamp 1
		.amdhsa_ieee_mode 1
		.amdhsa_fp16_overflow 0
		.amdhsa_tg_split 0
		.amdhsa_exception_fp_ieee_invalid_op 0
		.amdhsa_exception_fp_denorm_src 0
		.amdhsa_exception_fp_ieee_div_zero 0
		.amdhsa_exception_fp_ieee_overflow 0
		.amdhsa_exception_fp_ieee_underflow 0
		.amdhsa_exception_fp_ieee_inexact 0
		.amdhsa_exception_int_div_zero 0
	.end_amdhsa_kernel
	.section	.text._Z32nll_loss_forward_reduce2d_kernelI6__halfS0_iLi64EEvPT_S2_PKS1_PKT1_S4_blll,"axG",@progbits,_Z32nll_loss_forward_reduce2d_kernelI6__halfS0_iLi64EEvPT_S2_PKS1_PKT1_S4_blll,comdat
.Lfunc_end5:
	.size	_Z32nll_loss_forward_reduce2d_kernelI6__halfS0_iLi64EEvPT_S2_PKS1_PKT1_S4_blll, .Lfunc_end5-_Z32nll_loss_forward_reduce2d_kernelI6__halfS0_iLi64EEvPT_S2_PKS1_PKT1_S4_blll
                                        ; -- End function
	.section	.AMDGPU.csdata,"",@progbits
; Kernel info:
; codeLenInByte = 1464
; NumSgprs: 30
; NumVgprs: 27
; NumAgprs: 0
; TotalNumVgprs: 27
; ScratchSize: 0
; MemoryBound: 0
; FloatMode: 240
; IeeeMode: 1
; LDSByteSize: 256 bytes/workgroup (compile time only)
; SGPRBlocks: 3
; VGPRBlocks: 3
; NumSGPRsForWavesPerEU: 30
; NumVGPRsForWavesPerEU: 27
; AccumOffset: 28
; Occupancy: 8
; WaveLimiterHint : 1
; COMPUTE_PGM_RSRC2:SCRATCH_EN: 0
; COMPUTE_PGM_RSRC2:USER_SGPR: 6
; COMPUTE_PGM_RSRC2:TRAP_HANDLER: 0
; COMPUTE_PGM_RSRC2:TGID_X_EN: 1
; COMPUTE_PGM_RSRC2:TGID_Y_EN: 0
; COMPUTE_PGM_RSRC2:TGID_Z_EN: 0
; COMPUTE_PGM_RSRC2:TIDIG_COMP_CNT: 0
; COMPUTE_PGM_RSRC3_GFX90A:ACCUM_OFFSET: 6
; COMPUTE_PGM_RSRC3_GFX90A:TG_SPLIT: 0
	.section	.text._Z32nll_loss_forward_reduce2d_kernelI6__halfS0_iLi128EEvPT_S2_PKS1_PKT1_S4_blll,"axG",@progbits,_Z32nll_loss_forward_reduce2d_kernelI6__halfS0_iLi128EEvPT_S2_PKS1_PKT1_S4_blll,comdat
	.protected	_Z32nll_loss_forward_reduce2d_kernelI6__halfS0_iLi128EEvPT_S2_PKS1_PKT1_S4_blll ; -- Begin function _Z32nll_loss_forward_reduce2d_kernelI6__halfS0_iLi128EEvPT_S2_PKS1_PKT1_S4_blll
	.globl	_Z32nll_loss_forward_reduce2d_kernelI6__halfS0_iLi128EEvPT_S2_PKS1_PKT1_S4_blll
	.p2align	8
	.type	_Z32nll_loss_forward_reduce2d_kernelI6__halfS0_iLi128EEvPT_S2_PKS1_PKT1_S4_blll,@function
_Z32nll_loss_forward_reduce2d_kernelI6__halfS0_iLi128EEvPT_S2_PKS1_PKT1_S4_blll: ; @_Z32nll_loss_forward_reduce2d_kernelI6__halfS0_iLi128EEvPT_S2_PKS1_PKT1_S4_blll
; %bb.0:
	s_load_dwordx4 s[8:11], s[4:5], 0x0
	s_load_dwordx4 s[12:15], s[4:5], 0x30
	v_mov_b32_e32 v1, 0
	v_lshlrev_b32_e32 v10, 1, v0
	ds_write_b16 v10, v1 offset:256
	ds_write_b16 v10, v1
	s_waitcnt lgkmcnt(0)
	v_cmp_gt_i64_e32 vcc, s[12:13], v[0:1]
	s_and_saveexec_b64 s[6:7], vcc
	s_cbranch_execz .LBB6_8
; %bb.1:
	v_mad_u64_u32 v[2:3], s[24:25], s14, v0, 0
	s_load_dwordx2 s[16:17], s[4:5], 0x20
	s_load_dwordx4 s[0:3], s[4:5], 0x10
	s_load_dwordx2 s[18:19], s[4:5], 0x40
	v_mov_b32_e32 v4, v3
	v_mad_u64_u32 v[4:5], s[24:25], s15, v0, v[4:5]
	v_mov_b32_e32 v3, v4
	v_lshlrev_b64 v[2:3], 1, v[2:3]
	s_waitcnt lgkmcnt(0)
	s_cmp_lg_u64 s[16:17], 0
	v_mov_b32_e32 v4, s1
	v_add_co_u32_e32 v2, vcc, s0, v2
	s_cselect_b64 s[22:23], -1, 0
	v_addc_co_u32_e32 v3, vcc, v4, v3, vcc
	v_lshlrev_b32_e32 v4, 2, v0
	s_lshl_b64 s[14:15], s[14:15], 8
	v_mov_b32_e32 v5, s3
	v_add_co_u32_e32 v4, vcc, s2, v4
	v_cndmask_b32_e64 v6, 0, 1, s[22:23]
	v_add_u32_e32 v11, 0x100, v10
	s_mov_b64 s[20:21], 0
	v_addc_co_u32_e32 v5, vcc, 0, v5, vcc
	v_cmp_ne_u32_e64 s[0:1], 1, v6
	v_mov_b32_e32 v12, s15
	v_mov_b32_e32 v13, v1
	v_pk_mov_b32 v[6:7], v[0:1], v[0:1] op_sel:[0,1]
	s_branch .LBB6_5
.LBB6_2:                                ;   in Loop: Header=BB6_5 Depth=1
	v_mov_b32_e32 v15, s17
	v_add_co_u32_e32 v14, vcc, s16, v8
	v_addc_co_u32_e32 v15, vcc, v15, v9, vcc
	global_load_ushort v14, v[14:15], off
.LBB6_3:                                ;   in Loop: Header=BB6_5 Depth=1
	v_add_co_u32_e32 v8, vcc, v2, v8
	v_addc_co_u32_e32 v9, vcc, v3, v9, vcc
	global_load_ushort v8, v[8:9], off
	s_waitcnt vmcnt(1)
	v_add_f16_e32 v1, v14, v1
	s_waitcnt vmcnt(0)
	v_fma_f16 v13, -v14, v8, v13
	ds_write_b16 v11, v13
	ds_write_b16 v10, v1
.LBB6_4:                                ;   in Loop: Header=BB6_5 Depth=1
	s_or_b64 exec, exec, s[2:3]
	v_add_co_u32_e32 v6, vcc, 0x80, v6
	v_addc_co_u32_e32 v7, vcc, 0, v7, vcc
	v_add_co_u32_e32 v2, vcc, s14, v2
	v_addc_co_u32_e32 v3, vcc, v3, v12, vcc
	v_add_co_u32_e32 v4, vcc, 0x200, v4
	v_cmp_le_i64_e64 s[2:3], s[12:13], v[6:7]
	s_or_b64 s[20:21], s[2:3], s[20:21]
	v_addc_co_u32_e32 v5, vcc, 0, v5, vcc
	s_andn2_b64 exec, exec, s[20:21]
	s_cbranch_execz .LBB6_8
.LBB6_5:                                ; =>This Inner Loop Header: Depth=1
	global_load_dword v8, v[4:5], off
	s_waitcnt vmcnt(0)
	v_ashrrev_i32_e32 v9, 31, v8
	v_cmp_ne_u64_e32 vcc, s[18:19], v[8:9]
	s_and_saveexec_b64 s[2:3], vcc
	s_cbranch_execz .LBB6_4
; %bb.6:                                ;   in Loop: Header=BB6_5 Depth=1
	s_and_b64 vcc, exec, s[0:1]
	v_lshlrev_b64 v[8:9], 1, v[8:9]
	s_cbranch_vccz .LBB6_2
; %bb.7:                                ;   in Loop: Header=BB6_5 Depth=1
	v_mov_b32_e32 v14, 0x3c00
	s_branch .LBB6_3
.LBB6_8:
	s_or_b64 exec, exec, s[6:7]
; %bb.9:
	v_cmp_eq_u32_e32 vcc, 0, v0
	s_waitcnt lgkmcnt(0)
	s_barrier
	s_and_saveexec_b64 s[0:1], vcc
	s_cbranch_execz .LBB6_13
; %bb.10:
	s_mov_b32 s0, 0
	v_mov_b32_e32 v0, 0
	v_mov_b32_e32 v1, 0
.LBB6_11:                               ; =>This Inner Loop Header: Depth=1
	v_mov_b32_e32 v14, s0
	ds_read_b128 v[2:5], v14 offset:256
	ds_read_b128 v[6:9], v14
	ds_read_b128 v[10:13], v14 offset:16
	ds_read_b128 v[14:17], v14 offset:272
	s_add_i32 s0, s0, 32
	s_waitcnt lgkmcnt(3)
	v_add_f16_e32 v1, v1, v2
	s_waitcnt lgkmcnt(2)
	v_add_f16_e32 v0, v0, v6
	v_add_f16_sdwa v1, v1, v2 dst_sel:DWORD dst_unused:UNUSED_PAD src0_sel:DWORD src1_sel:WORD_1
	v_add_f16_sdwa v0, v0, v6 dst_sel:DWORD dst_unused:UNUSED_PAD src0_sel:DWORD src1_sel:WORD_1
	v_add_f16_e32 v1, v1, v3
	v_add_f16_e32 v0, v0, v7
	v_add_f16_sdwa v1, v1, v3 dst_sel:DWORD dst_unused:UNUSED_PAD src0_sel:DWORD src1_sel:WORD_1
	v_add_f16_sdwa v0, v0, v7 dst_sel:DWORD dst_unused:UNUSED_PAD src0_sel:DWORD src1_sel:WORD_1
	v_add_f16_e32 v1, v1, v4
	;; [unrolled: 4-line block ×3, first 2 shown]
	v_add_f16_e32 v0, v0, v9
	v_add_f16_sdwa v1, v1, v5 dst_sel:DWORD dst_unused:UNUSED_PAD src0_sel:DWORD src1_sel:WORD_1
	v_add_f16_sdwa v0, v0, v9 dst_sel:DWORD dst_unused:UNUSED_PAD src0_sel:DWORD src1_sel:WORD_1
	s_waitcnt lgkmcnt(0)
	v_add_f16_e32 v1, v1, v14
	v_add_f16_e32 v0, v0, v10
	v_add_f16_sdwa v1, v1, v14 dst_sel:DWORD dst_unused:UNUSED_PAD src0_sel:DWORD src1_sel:WORD_1
	v_add_f16_sdwa v0, v0, v10 dst_sel:DWORD dst_unused:UNUSED_PAD src0_sel:DWORD src1_sel:WORD_1
	v_add_f16_e32 v1, v1, v15
	v_add_f16_e32 v0, v0, v11
	v_add_f16_sdwa v1, v1, v15 dst_sel:DWORD dst_unused:UNUSED_PAD src0_sel:DWORD src1_sel:WORD_1
	v_add_f16_sdwa v0, v0, v11 dst_sel:DWORD dst_unused:UNUSED_PAD src0_sel:DWORD src1_sel:WORD_1
	;; [unrolled: 4-line block ×3, first 2 shown]
	v_add_f16_e32 v1, v1, v17
	v_add_f16_e32 v0, v0, v13
	s_cmpk_eq_i32 s0, 0x100
	v_add_f16_sdwa v1, v1, v17 dst_sel:DWORD dst_unused:UNUSED_PAD src0_sel:DWORD src1_sel:WORD_1
	v_add_f16_sdwa v0, v0, v13 dst_sel:DWORD dst_unused:UNUSED_PAD src0_sel:DWORD src1_sel:WORD_1
	s_cbranch_scc0 .LBB6_11
; %bb.12:
	v_cvt_f32_f16_e32 v2, v0
	v_cvt_f32_f16_e32 v3, v1
	s_load_dword s0, s[4:5], 0x28
	v_rcp_f32_e32 v4, v2
	s_waitcnt lgkmcnt(0)
	s_bitcmp1_b32 s0, 0
	v_mul_f32_e32 v5, v3, v4
	v_mad_f32 v6, -v2, v5, v3
	v_mac_f32_e32 v5, v6, v4
	v_mad_f32 v2, -v2, v5, v3
	v_mul_f32_e32 v2, v2, v4
	v_and_b32_e32 v2, 0xff800000, v2
	v_add_f32_e32 v2, v2, v5
	v_cvt_f16_f32_e32 v2, v2
	v_mov_b32_e32 v3, 0
	global_store_short v3, v0, s[10:11]
	s_cselect_b64 vcc, -1, 0
	v_div_fixup_f16 v0, v2, v0, v1
	v_cndmask_b32_e32 v0, v1, v0, vcc
	global_store_short v3, v0, s[8:9]
.LBB6_13:
	s_endpgm
	.section	.rodata,"a",@progbits
	.p2align	6, 0x0
	.amdhsa_kernel _Z32nll_loss_forward_reduce2d_kernelI6__halfS0_iLi128EEvPT_S2_PKS1_PKT1_S4_blll
		.amdhsa_group_segment_fixed_size 512
		.amdhsa_private_segment_fixed_size 0
		.amdhsa_kernarg_size 72
		.amdhsa_user_sgpr_count 6
		.amdhsa_user_sgpr_private_segment_buffer 1
		.amdhsa_user_sgpr_dispatch_ptr 0
		.amdhsa_user_sgpr_queue_ptr 0
		.amdhsa_user_sgpr_kernarg_segment_ptr 1
		.amdhsa_user_sgpr_dispatch_id 0
		.amdhsa_user_sgpr_flat_scratch_init 0
		.amdhsa_user_sgpr_kernarg_preload_length 0
		.amdhsa_user_sgpr_kernarg_preload_offset 0
		.amdhsa_user_sgpr_private_segment_size 0
		.amdhsa_uses_dynamic_stack 0
		.amdhsa_system_sgpr_private_segment_wavefront_offset 0
		.amdhsa_system_sgpr_workgroup_id_x 1
		.amdhsa_system_sgpr_workgroup_id_y 0
		.amdhsa_system_sgpr_workgroup_id_z 0
		.amdhsa_system_sgpr_workgroup_info 0
		.amdhsa_system_vgpr_workitem_id 0
		.amdhsa_next_free_vgpr 18
		.amdhsa_next_free_sgpr 26
		.amdhsa_accum_offset 20
		.amdhsa_reserve_vcc 1
		.amdhsa_reserve_flat_scratch 0
		.amdhsa_float_round_mode_32 0
		.amdhsa_float_round_mode_16_64 0
		.amdhsa_float_denorm_mode_32 3
		.amdhsa_float_denorm_mode_16_64 3
		.amdhsa_dx10_clamp 1
		.amdhsa_ieee_mode 1
		.amdhsa_fp16_overflow 0
		.amdhsa_tg_split 0
		.amdhsa_exception_fp_ieee_invalid_op 0
		.amdhsa_exception_fp_denorm_src 0
		.amdhsa_exception_fp_ieee_div_zero 0
		.amdhsa_exception_fp_ieee_overflow 0
		.amdhsa_exception_fp_ieee_underflow 0
		.amdhsa_exception_fp_ieee_inexact 0
		.amdhsa_exception_int_div_zero 0
	.end_amdhsa_kernel
	.section	.text._Z32nll_loss_forward_reduce2d_kernelI6__halfS0_iLi128EEvPT_S2_PKS1_PKT1_S4_blll,"axG",@progbits,_Z32nll_loss_forward_reduce2d_kernelI6__halfS0_iLi128EEvPT_S2_PKS1_PKT1_S4_blll,comdat
.Lfunc_end6:
	.size	_Z32nll_loss_forward_reduce2d_kernelI6__halfS0_iLi128EEvPT_S2_PKS1_PKT1_S4_blll, .Lfunc_end6-_Z32nll_loss_forward_reduce2d_kernelI6__halfS0_iLi128EEvPT_S2_PKS1_PKT1_S4_blll
                                        ; -- End function
	.section	.AMDGPU.csdata,"",@progbits
; Kernel info:
; codeLenInByte = 788
; NumSgprs: 30
; NumVgprs: 18
; NumAgprs: 0
; TotalNumVgprs: 18
; ScratchSize: 0
; MemoryBound: 0
; FloatMode: 240
; IeeeMode: 1
; LDSByteSize: 512 bytes/workgroup (compile time only)
; SGPRBlocks: 3
; VGPRBlocks: 2
; NumSGPRsForWavesPerEU: 30
; NumVGPRsForWavesPerEU: 18
; AccumOffset: 20
; Occupancy: 8
; WaveLimiterHint : 1
; COMPUTE_PGM_RSRC2:SCRATCH_EN: 0
; COMPUTE_PGM_RSRC2:USER_SGPR: 6
; COMPUTE_PGM_RSRC2:TRAP_HANDLER: 0
; COMPUTE_PGM_RSRC2:TGID_X_EN: 1
; COMPUTE_PGM_RSRC2:TGID_Y_EN: 0
; COMPUTE_PGM_RSRC2:TGID_Z_EN: 0
; COMPUTE_PGM_RSRC2:TIDIG_COMP_CNT: 0
; COMPUTE_PGM_RSRC3_GFX90A:ACCUM_OFFSET: 4
; COMPUTE_PGM_RSRC3_GFX90A:TG_SPLIT: 0
	.section	.text._Z32nll_loss_forward_reduce2d_kernelI6__halfS0_iLi256EEvPT_S2_PKS1_PKT1_S4_blll,"axG",@progbits,_Z32nll_loss_forward_reduce2d_kernelI6__halfS0_iLi256EEvPT_S2_PKS1_PKT1_S4_blll,comdat
	.protected	_Z32nll_loss_forward_reduce2d_kernelI6__halfS0_iLi256EEvPT_S2_PKS1_PKT1_S4_blll ; -- Begin function _Z32nll_loss_forward_reduce2d_kernelI6__halfS0_iLi256EEvPT_S2_PKS1_PKT1_S4_blll
	.globl	_Z32nll_loss_forward_reduce2d_kernelI6__halfS0_iLi256EEvPT_S2_PKS1_PKT1_S4_blll
	.p2align	8
	.type	_Z32nll_loss_forward_reduce2d_kernelI6__halfS0_iLi256EEvPT_S2_PKS1_PKT1_S4_blll,@function
_Z32nll_loss_forward_reduce2d_kernelI6__halfS0_iLi256EEvPT_S2_PKS1_PKT1_S4_blll: ; @_Z32nll_loss_forward_reduce2d_kernelI6__halfS0_iLi256EEvPT_S2_PKS1_PKT1_S4_blll
; %bb.0:
	s_load_dwordx4 s[8:11], s[4:5], 0x0
	s_load_dwordx4 s[12:15], s[4:5], 0x30
	v_mov_b32_e32 v1, 0
	v_lshlrev_b32_e32 v10, 1, v0
	ds_write_b16 v10, v1 offset:512
	ds_write_b16 v10, v1
	s_waitcnt lgkmcnt(0)
	v_cmp_gt_i64_e32 vcc, s[12:13], v[0:1]
	s_and_saveexec_b64 s[6:7], vcc
	s_cbranch_execz .LBB7_8
; %bb.1:
	v_mad_u64_u32 v[2:3], s[24:25], s14, v0, 0
	s_load_dwordx2 s[16:17], s[4:5], 0x20
	s_load_dwordx4 s[0:3], s[4:5], 0x10
	s_load_dwordx2 s[18:19], s[4:5], 0x40
	v_mov_b32_e32 v4, v3
	v_mad_u64_u32 v[4:5], s[24:25], s15, v0, v[4:5]
	v_mov_b32_e32 v3, v4
	v_lshlrev_b64 v[2:3], 1, v[2:3]
	s_waitcnt lgkmcnt(0)
	s_cmp_lg_u64 s[16:17], 0
	v_mov_b32_e32 v4, s1
	v_add_co_u32_e32 v2, vcc, s0, v2
	s_cselect_b64 s[22:23], -1, 0
	v_addc_co_u32_e32 v3, vcc, v4, v3, vcc
	v_lshlrev_b32_e32 v4, 2, v0
	s_lshl_b64 s[14:15], s[14:15], 9
	v_mov_b32_e32 v5, s3
	v_add_co_u32_e32 v4, vcc, s2, v4
	v_cndmask_b32_e64 v6, 0, 1, s[22:23]
	v_add_u32_e32 v11, 0x200, v10
	s_mov_b64 s[20:21], 0
	v_addc_co_u32_e32 v5, vcc, 0, v5, vcc
	v_cmp_ne_u32_e64 s[0:1], 1, v6
	v_mov_b32_e32 v12, s15
	v_mov_b32_e32 v13, v1
	v_pk_mov_b32 v[6:7], v[0:1], v[0:1] op_sel:[0,1]
	s_branch .LBB7_5
.LBB7_2:                                ;   in Loop: Header=BB7_5 Depth=1
	v_mov_b32_e32 v15, s17
	v_add_co_u32_e32 v14, vcc, s16, v8
	v_addc_co_u32_e32 v15, vcc, v15, v9, vcc
	global_load_ushort v14, v[14:15], off
.LBB7_3:                                ;   in Loop: Header=BB7_5 Depth=1
	v_add_co_u32_e32 v8, vcc, v2, v8
	v_addc_co_u32_e32 v9, vcc, v3, v9, vcc
	global_load_ushort v8, v[8:9], off
	s_waitcnt vmcnt(1)
	v_add_f16_e32 v1, v14, v1
	s_waitcnt vmcnt(0)
	v_fma_f16 v13, -v14, v8, v13
	ds_write_b16 v11, v13
	ds_write_b16 v10, v1
.LBB7_4:                                ;   in Loop: Header=BB7_5 Depth=1
	s_or_b64 exec, exec, s[2:3]
	v_add_co_u32_e32 v6, vcc, 0x100, v6
	v_addc_co_u32_e32 v7, vcc, 0, v7, vcc
	v_add_co_u32_e32 v2, vcc, s14, v2
	v_addc_co_u32_e32 v3, vcc, v3, v12, vcc
	v_add_co_u32_e32 v4, vcc, 0x400, v4
	v_cmp_le_i64_e64 s[2:3], s[12:13], v[6:7]
	s_or_b64 s[20:21], s[2:3], s[20:21]
	v_addc_co_u32_e32 v5, vcc, 0, v5, vcc
	s_andn2_b64 exec, exec, s[20:21]
	s_cbranch_execz .LBB7_8
.LBB7_5:                                ; =>This Inner Loop Header: Depth=1
	global_load_dword v8, v[4:5], off
	s_waitcnt vmcnt(0)
	v_ashrrev_i32_e32 v9, 31, v8
	v_cmp_ne_u64_e32 vcc, s[18:19], v[8:9]
	s_and_saveexec_b64 s[2:3], vcc
	s_cbranch_execz .LBB7_4
; %bb.6:                                ;   in Loop: Header=BB7_5 Depth=1
	s_and_b64 vcc, exec, s[0:1]
	v_lshlrev_b64 v[8:9], 1, v[8:9]
	s_cbranch_vccz .LBB7_2
; %bb.7:                                ;   in Loop: Header=BB7_5 Depth=1
	v_mov_b32_e32 v14, 0x3c00
	s_branch .LBB7_3
.LBB7_8:
	s_or_b64 exec, exec, s[6:7]
; %bb.9:
	v_cmp_eq_u32_e32 vcc, 0, v0
	s_waitcnt lgkmcnt(0)
	s_barrier
	s_and_saveexec_b64 s[0:1], vcc
	s_cbranch_execz .LBB7_13
; %bb.10:
	s_mov_b32 s0, 0
	v_mov_b32_e32 v0, 0
	v_mov_b32_e32 v1, 0
.LBB7_11:                               ; =>This Inner Loop Header: Depth=1
	v_mov_b32_e32 v14, s0
	ds_read_b128 v[2:5], v14 offset:512
	ds_read_b128 v[6:9], v14
	ds_read_b128 v[10:13], v14 offset:16
	ds_read_b128 v[14:17], v14 offset:528
	s_add_i32 s0, s0, 32
	s_waitcnt lgkmcnt(3)
	v_add_f16_e32 v1, v1, v2
	s_waitcnt lgkmcnt(2)
	v_add_f16_e32 v0, v0, v6
	v_add_f16_sdwa v1, v1, v2 dst_sel:DWORD dst_unused:UNUSED_PAD src0_sel:DWORD src1_sel:WORD_1
	v_add_f16_sdwa v0, v0, v6 dst_sel:DWORD dst_unused:UNUSED_PAD src0_sel:DWORD src1_sel:WORD_1
	v_add_f16_e32 v1, v1, v3
	v_add_f16_e32 v0, v0, v7
	v_add_f16_sdwa v1, v1, v3 dst_sel:DWORD dst_unused:UNUSED_PAD src0_sel:DWORD src1_sel:WORD_1
	v_add_f16_sdwa v0, v0, v7 dst_sel:DWORD dst_unused:UNUSED_PAD src0_sel:DWORD src1_sel:WORD_1
	v_add_f16_e32 v1, v1, v4
	;; [unrolled: 4-line block ×3, first 2 shown]
	v_add_f16_e32 v0, v0, v9
	v_add_f16_sdwa v1, v1, v5 dst_sel:DWORD dst_unused:UNUSED_PAD src0_sel:DWORD src1_sel:WORD_1
	v_add_f16_sdwa v0, v0, v9 dst_sel:DWORD dst_unused:UNUSED_PAD src0_sel:DWORD src1_sel:WORD_1
	s_waitcnt lgkmcnt(0)
	v_add_f16_e32 v1, v1, v14
	v_add_f16_e32 v0, v0, v10
	v_add_f16_sdwa v1, v1, v14 dst_sel:DWORD dst_unused:UNUSED_PAD src0_sel:DWORD src1_sel:WORD_1
	v_add_f16_sdwa v0, v0, v10 dst_sel:DWORD dst_unused:UNUSED_PAD src0_sel:DWORD src1_sel:WORD_1
	v_add_f16_e32 v1, v1, v15
	v_add_f16_e32 v0, v0, v11
	v_add_f16_sdwa v1, v1, v15 dst_sel:DWORD dst_unused:UNUSED_PAD src0_sel:DWORD src1_sel:WORD_1
	v_add_f16_sdwa v0, v0, v11 dst_sel:DWORD dst_unused:UNUSED_PAD src0_sel:DWORD src1_sel:WORD_1
	;; [unrolled: 4-line block ×3, first 2 shown]
	v_add_f16_e32 v1, v1, v17
	v_add_f16_e32 v0, v0, v13
	s_cmpk_eq_i32 s0, 0x200
	v_add_f16_sdwa v1, v1, v17 dst_sel:DWORD dst_unused:UNUSED_PAD src0_sel:DWORD src1_sel:WORD_1
	v_add_f16_sdwa v0, v0, v13 dst_sel:DWORD dst_unused:UNUSED_PAD src0_sel:DWORD src1_sel:WORD_1
	s_cbranch_scc0 .LBB7_11
; %bb.12:
	v_cvt_f32_f16_e32 v2, v0
	v_cvt_f32_f16_e32 v3, v1
	s_load_dword s0, s[4:5], 0x28
	v_rcp_f32_e32 v4, v2
	s_waitcnt lgkmcnt(0)
	s_bitcmp1_b32 s0, 0
	v_mul_f32_e32 v5, v3, v4
	v_mad_f32 v6, -v2, v5, v3
	v_mac_f32_e32 v5, v6, v4
	v_mad_f32 v2, -v2, v5, v3
	v_mul_f32_e32 v2, v2, v4
	v_and_b32_e32 v2, 0xff800000, v2
	v_add_f32_e32 v2, v2, v5
	v_cvt_f16_f32_e32 v2, v2
	v_mov_b32_e32 v3, 0
	global_store_short v3, v0, s[10:11]
	s_cselect_b64 vcc, -1, 0
	v_div_fixup_f16 v0, v2, v0, v1
	v_cndmask_b32_e32 v0, v1, v0, vcc
	global_store_short v3, v0, s[8:9]
.LBB7_13:
	s_endpgm
	.section	.rodata,"a",@progbits
	.p2align	6, 0x0
	.amdhsa_kernel _Z32nll_loss_forward_reduce2d_kernelI6__halfS0_iLi256EEvPT_S2_PKS1_PKT1_S4_blll
		.amdhsa_group_segment_fixed_size 1024
		.amdhsa_private_segment_fixed_size 0
		.amdhsa_kernarg_size 72
		.amdhsa_user_sgpr_count 6
		.amdhsa_user_sgpr_private_segment_buffer 1
		.amdhsa_user_sgpr_dispatch_ptr 0
		.amdhsa_user_sgpr_queue_ptr 0
		.amdhsa_user_sgpr_kernarg_segment_ptr 1
		.amdhsa_user_sgpr_dispatch_id 0
		.amdhsa_user_sgpr_flat_scratch_init 0
		.amdhsa_user_sgpr_kernarg_preload_length 0
		.amdhsa_user_sgpr_kernarg_preload_offset 0
		.amdhsa_user_sgpr_private_segment_size 0
		.amdhsa_uses_dynamic_stack 0
		.amdhsa_system_sgpr_private_segment_wavefront_offset 0
		.amdhsa_system_sgpr_workgroup_id_x 1
		.amdhsa_system_sgpr_workgroup_id_y 0
		.amdhsa_system_sgpr_workgroup_id_z 0
		.amdhsa_system_sgpr_workgroup_info 0
		.amdhsa_system_vgpr_workitem_id 0
		.amdhsa_next_free_vgpr 18
		.amdhsa_next_free_sgpr 26
		.amdhsa_accum_offset 20
		.amdhsa_reserve_vcc 1
		.amdhsa_reserve_flat_scratch 0
		.amdhsa_float_round_mode_32 0
		.amdhsa_float_round_mode_16_64 0
		.amdhsa_float_denorm_mode_32 3
		.amdhsa_float_denorm_mode_16_64 3
		.amdhsa_dx10_clamp 1
		.amdhsa_ieee_mode 1
		.amdhsa_fp16_overflow 0
		.amdhsa_tg_split 0
		.amdhsa_exception_fp_ieee_invalid_op 0
		.amdhsa_exception_fp_denorm_src 0
		.amdhsa_exception_fp_ieee_div_zero 0
		.amdhsa_exception_fp_ieee_overflow 0
		.amdhsa_exception_fp_ieee_underflow 0
		.amdhsa_exception_fp_ieee_inexact 0
		.amdhsa_exception_int_div_zero 0
	.end_amdhsa_kernel
	.section	.text._Z32nll_loss_forward_reduce2d_kernelI6__halfS0_iLi256EEvPT_S2_PKS1_PKT1_S4_blll,"axG",@progbits,_Z32nll_loss_forward_reduce2d_kernelI6__halfS0_iLi256EEvPT_S2_PKS1_PKT1_S4_blll,comdat
.Lfunc_end7:
	.size	_Z32nll_loss_forward_reduce2d_kernelI6__halfS0_iLi256EEvPT_S2_PKS1_PKT1_S4_blll, .Lfunc_end7-_Z32nll_loss_forward_reduce2d_kernelI6__halfS0_iLi256EEvPT_S2_PKS1_PKT1_S4_blll
                                        ; -- End function
	.section	.AMDGPU.csdata,"",@progbits
; Kernel info:
; codeLenInByte = 788
; NumSgprs: 30
; NumVgprs: 18
; NumAgprs: 0
; TotalNumVgprs: 18
; ScratchSize: 0
; MemoryBound: 0
; FloatMode: 240
; IeeeMode: 1
; LDSByteSize: 1024 bytes/workgroup (compile time only)
; SGPRBlocks: 3
; VGPRBlocks: 2
; NumSGPRsForWavesPerEU: 30
; NumVGPRsForWavesPerEU: 18
; AccumOffset: 20
; Occupancy: 8
; WaveLimiterHint : 1
; COMPUTE_PGM_RSRC2:SCRATCH_EN: 0
; COMPUTE_PGM_RSRC2:USER_SGPR: 6
; COMPUTE_PGM_RSRC2:TRAP_HANDLER: 0
; COMPUTE_PGM_RSRC2:TGID_X_EN: 1
; COMPUTE_PGM_RSRC2:TGID_Y_EN: 0
; COMPUTE_PGM_RSRC2:TGID_Z_EN: 0
; COMPUTE_PGM_RSRC2:TIDIG_COMP_CNT: 0
; COMPUTE_PGM_RSRC3_GFX90A:ACCUM_OFFSET: 4
; COMPUTE_PGM_RSRC3_GFX90A:TG_SPLIT: 0
	.section	.text._Z32nll_loss_forward_reduce2d_kernelI6__halfS0_iLi512EEvPT_S2_PKS1_PKT1_S4_blll,"axG",@progbits,_Z32nll_loss_forward_reduce2d_kernelI6__halfS0_iLi512EEvPT_S2_PKS1_PKT1_S4_blll,comdat
	.protected	_Z32nll_loss_forward_reduce2d_kernelI6__halfS0_iLi512EEvPT_S2_PKS1_PKT1_S4_blll ; -- Begin function _Z32nll_loss_forward_reduce2d_kernelI6__halfS0_iLi512EEvPT_S2_PKS1_PKT1_S4_blll
	.globl	_Z32nll_loss_forward_reduce2d_kernelI6__halfS0_iLi512EEvPT_S2_PKS1_PKT1_S4_blll
	.p2align	8
	.type	_Z32nll_loss_forward_reduce2d_kernelI6__halfS0_iLi512EEvPT_S2_PKS1_PKT1_S4_blll,@function
_Z32nll_loss_forward_reduce2d_kernelI6__halfS0_iLi512EEvPT_S2_PKS1_PKT1_S4_blll: ; @_Z32nll_loss_forward_reduce2d_kernelI6__halfS0_iLi512EEvPT_S2_PKS1_PKT1_S4_blll
; %bb.0:
	s_load_dwordx4 s[8:11], s[4:5], 0x0
	s_load_dwordx4 s[12:15], s[4:5], 0x30
	v_mov_b32_e32 v1, 0
	v_lshlrev_b32_e32 v10, 1, v0
	ds_write_b16 v10, v1 offset:1024
	ds_write_b16 v10, v1
	s_waitcnt lgkmcnt(0)
	v_cmp_gt_i64_e32 vcc, s[12:13], v[0:1]
	s_and_saveexec_b64 s[6:7], vcc
	s_cbranch_execz .LBB8_8
; %bb.1:
	v_mad_u64_u32 v[2:3], s[24:25], s14, v0, 0
	s_load_dwordx2 s[16:17], s[4:5], 0x20
	s_load_dwordx4 s[0:3], s[4:5], 0x10
	s_load_dwordx2 s[18:19], s[4:5], 0x40
	v_mov_b32_e32 v4, v3
	v_mad_u64_u32 v[4:5], s[24:25], s15, v0, v[4:5]
	v_mov_b32_e32 v3, v4
	v_lshlrev_b64 v[2:3], 1, v[2:3]
	s_waitcnt lgkmcnt(0)
	s_cmp_lg_u64 s[16:17], 0
	v_mov_b32_e32 v4, s1
	v_add_co_u32_e32 v2, vcc, s0, v2
	s_cselect_b64 s[22:23], -1, 0
	v_addc_co_u32_e32 v3, vcc, v4, v3, vcc
	v_lshlrev_b32_e32 v4, 2, v0
	s_lshl_b64 s[14:15], s[14:15], 10
	v_mov_b32_e32 v5, s3
	v_add_co_u32_e32 v4, vcc, s2, v4
	v_cndmask_b32_e64 v6, 0, 1, s[22:23]
	v_add_u32_e32 v11, 0x400, v10
	s_mov_b64 s[20:21], 0
	v_addc_co_u32_e32 v5, vcc, 0, v5, vcc
	v_cmp_ne_u32_e64 s[0:1], 1, v6
	v_mov_b32_e32 v12, s15
	v_mov_b32_e32 v13, v1
	v_pk_mov_b32 v[6:7], v[0:1], v[0:1] op_sel:[0,1]
	s_branch .LBB8_5
.LBB8_2:                                ;   in Loop: Header=BB8_5 Depth=1
	v_mov_b32_e32 v15, s17
	v_add_co_u32_e32 v14, vcc, s16, v8
	v_addc_co_u32_e32 v15, vcc, v15, v9, vcc
	global_load_ushort v14, v[14:15], off
.LBB8_3:                                ;   in Loop: Header=BB8_5 Depth=1
	v_add_co_u32_e32 v8, vcc, v2, v8
	v_addc_co_u32_e32 v9, vcc, v3, v9, vcc
	global_load_ushort v8, v[8:9], off
	s_waitcnt vmcnt(1)
	v_add_f16_e32 v1, v14, v1
	s_waitcnt vmcnt(0)
	v_fma_f16 v13, -v14, v8, v13
	ds_write_b16 v11, v13
	ds_write_b16 v10, v1
.LBB8_4:                                ;   in Loop: Header=BB8_5 Depth=1
	s_or_b64 exec, exec, s[2:3]
	v_add_co_u32_e32 v6, vcc, 0x200, v6
	v_addc_co_u32_e32 v7, vcc, 0, v7, vcc
	v_add_co_u32_e32 v2, vcc, s14, v2
	v_addc_co_u32_e32 v3, vcc, v3, v12, vcc
	v_add_co_u32_e32 v4, vcc, 0x800, v4
	v_cmp_le_i64_e64 s[2:3], s[12:13], v[6:7]
	s_or_b64 s[20:21], s[2:3], s[20:21]
	v_addc_co_u32_e32 v5, vcc, 0, v5, vcc
	s_andn2_b64 exec, exec, s[20:21]
	s_cbranch_execz .LBB8_8
.LBB8_5:                                ; =>This Inner Loop Header: Depth=1
	global_load_dword v8, v[4:5], off
	s_waitcnt vmcnt(0)
	v_ashrrev_i32_e32 v9, 31, v8
	v_cmp_ne_u64_e32 vcc, s[18:19], v[8:9]
	s_and_saveexec_b64 s[2:3], vcc
	s_cbranch_execz .LBB8_4
; %bb.6:                                ;   in Loop: Header=BB8_5 Depth=1
	s_and_b64 vcc, exec, s[0:1]
	v_lshlrev_b64 v[8:9], 1, v[8:9]
	s_cbranch_vccz .LBB8_2
; %bb.7:                                ;   in Loop: Header=BB8_5 Depth=1
	v_mov_b32_e32 v14, 0x3c00
	s_branch .LBB8_3
.LBB8_8:
	s_or_b64 exec, exec, s[6:7]
; %bb.9:
	v_cmp_eq_u32_e32 vcc, 0, v0
	s_waitcnt lgkmcnt(0)
	s_barrier
	s_and_saveexec_b64 s[0:1], vcc
	s_cbranch_execz .LBB8_13
; %bb.10:
	s_mov_b32 s0, 0
	v_mov_b32_e32 v0, 0
	v_mov_b32_e32 v1, 0
.LBB8_11:                               ; =>This Inner Loop Header: Depth=1
	v_mov_b32_e32 v14, s0
	ds_read_b128 v[2:5], v14 offset:1024
	ds_read_b128 v[6:9], v14
	ds_read_b128 v[10:13], v14 offset:16
	ds_read_b128 v[14:17], v14 offset:1040
	s_add_i32 s0, s0, 32
	s_waitcnt lgkmcnt(3)
	v_add_f16_e32 v1, v1, v2
	s_waitcnt lgkmcnt(2)
	v_add_f16_e32 v0, v0, v6
	v_add_f16_sdwa v1, v1, v2 dst_sel:DWORD dst_unused:UNUSED_PAD src0_sel:DWORD src1_sel:WORD_1
	v_add_f16_sdwa v0, v0, v6 dst_sel:DWORD dst_unused:UNUSED_PAD src0_sel:DWORD src1_sel:WORD_1
	v_add_f16_e32 v1, v1, v3
	v_add_f16_e32 v0, v0, v7
	v_add_f16_sdwa v1, v1, v3 dst_sel:DWORD dst_unused:UNUSED_PAD src0_sel:DWORD src1_sel:WORD_1
	v_add_f16_sdwa v0, v0, v7 dst_sel:DWORD dst_unused:UNUSED_PAD src0_sel:DWORD src1_sel:WORD_1
	v_add_f16_e32 v1, v1, v4
	;; [unrolled: 4-line block ×3, first 2 shown]
	v_add_f16_e32 v0, v0, v9
	v_add_f16_sdwa v1, v1, v5 dst_sel:DWORD dst_unused:UNUSED_PAD src0_sel:DWORD src1_sel:WORD_1
	v_add_f16_sdwa v0, v0, v9 dst_sel:DWORD dst_unused:UNUSED_PAD src0_sel:DWORD src1_sel:WORD_1
	s_waitcnt lgkmcnt(0)
	v_add_f16_e32 v1, v1, v14
	v_add_f16_e32 v0, v0, v10
	v_add_f16_sdwa v1, v1, v14 dst_sel:DWORD dst_unused:UNUSED_PAD src0_sel:DWORD src1_sel:WORD_1
	v_add_f16_sdwa v0, v0, v10 dst_sel:DWORD dst_unused:UNUSED_PAD src0_sel:DWORD src1_sel:WORD_1
	v_add_f16_e32 v1, v1, v15
	v_add_f16_e32 v0, v0, v11
	v_add_f16_sdwa v1, v1, v15 dst_sel:DWORD dst_unused:UNUSED_PAD src0_sel:DWORD src1_sel:WORD_1
	v_add_f16_sdwa v0, v0, v11 dst_sel:DWORD dst_unused:UNUSED_PAD src0_sel:DWORD src1_sel:WORD_1
	;; [unrolled: 4-line block ×3, first 2 shown]
	v_add_f16_e32 v1, v1, v17
	v_add_f16_e32 v0, v0, v13
	s_cmpk_eq_i32 s0, 0x400
	v_add_f16_sdwa v1, v1, v17 dst_sel:DWORD dst_unused:UNUSED_PAD src0_sel:DWORD src1_sel:WORD_1
	v_add_f16_sdwa v0, v0, v13 dst_sel:DWORD dst_unused:UNUSED_PAD src0_sel:DWORD src1_sel:WORD_1
	s_cbranch_scc0 .LBB8_11
; %bb.12:
	v_cvt_f32_f16_e32 v2, v0
	v_cvt_f32_f16_e32 v3, v1
	s_load_dword s0, s[4:5], 0x28
	v_rcp_f32_e32 v4, v2
	s_waitcnt lgkmcnt(0)
	s_bitcmp1_b32 s0, 0
	v_mul_f32_e32 v5, v3, v4
	v_mad_f32 v6, -v2, v5, v3
	v_mac_f32_e32 v5, v6, v4
	v_mad_f32 v2, -v2, v5, v3
	v_mul_f32_e32 v2, v2, v4
	v_and_b32_e32 v2, 0xff800000, v2
	v_add_f32_e32 v2, v2, v5
	v_cvt_f16_f32_e32 v2, v2
	v_mov_b32_e32 v3, 0
	global_store_short v3, v0, s[10:11]
	s_cselect_b64 vcc, -1, 0
	v_div_fixup_f16 v0, v2, v0, v1
	v_cndmask_b32_e32 v0, v1, v0, vcc
	global_store_short v3, v0, s[8:9]
.LBB8_13:
	s_endpgm
	.section	.rodata,"a",@progbits
	.p2align	6, 0x0
	.amdhsa_kernel _Z32nll_loss_forward_reduce2d_kernelI6__halfS0_iLi512EEvPT_S2_PKS1_PKT1_S4_blll
		.amdhsa_group_segment_fixed_size 2048
		.amdhsa_private_segment_fixed_size 0
		.amdhsa_kernarg_size 72
		.amdhsa_user_sgpr_count 6
		.amdhsa_user_sgpr_private_segment_buffer 1
		.amdhsa_user_sgpr_dispatch_ptr 0
		.amdhsa_user_sgpr_queue_ptr 0
		.amdhsa_user_sgpr_kernarg_segment_ptr 1
		.amdhsa_user_sgpr_dispatch_id 0
		.amdhsa_user_sgpr_flat_scratch_init 0
		.amdhsa_user_sgpr_kernarg_preload_length 0
		.amdhsa_user_sgpr_kernarg_preload_offset 0
		.amdhsa_user_sgpr_private_segment_size 0
		.amdhsa_uses_dynamic_stack 0
		.amdhsa_system_sgpr_private_segment_wavefront_offset 0
		.amdhsa_system_sgpr_workgroup_id_x 1
		.amdhsa_system_sgpr_workgroup_id_y 0
		.amdhsa_system_sgpr_workgroup_id_z 0
		.amdhsa_system_sgpr_workgroup_info 0
		.amdhsa_system_vgpr_workitem_id 0
		.amdhsa_next_free_vgpr 18
		.amdhsa_next_free_sgpr 26
		.amdhsa_accum_offset 20
		.amdhsa_reserve_vcc 1
		.amdhsa_reserve_flat_scratch 0
		.amdhsa_float_round_mode_32 0
		.amdhsa_float_round_mode_16_64 0
		.amdhsa_float_denorm_mode_32 3
		.amdhsa_float_denorm_mode_16_64 3
		.amdhsa_dx10_clamp 1
		.amdhsa_ieee_mode 1
		.amdhsa_fp16_overflow 0
		.amdhsa_tg_split 0
		.amdhsa_exception_fp_ieee_invalid_op 0
		.amdhsa_exception_fp_denorm_src 0
		.amdhsa_exception_fp_ieee_div_zero 0
		.amdhsa_exception_fp_ieee_overflow 0
		.amdhsa_exception_fp_ieee_underflow 0
		.amdhsa_exception_fp_ieee_inexact 0
		.amdhsa_exception_int_div_zero 0
	.end_amdhsa_kernel
	.section	.text._Z32nll_loss_forward_reduce2d_kernelI6__halfS0_iLi512EEvPT_S2_PKS1_PKT1_S4_blll,"axG",@progbits,_Z32nll_loss_forward_reduce2d_kernelI6__halfS0_iLi512EEvPT_S2_PKS1_PKT1_S4_blll,comdat
.Lfunc_end8:
	.size	_Z32nll_loss_forward_reduce2d_kernelI6__halfS0_iLi512EEvPT_S2_PKS1_PKT1_S4_blll, .Lfunc_end8-_Z32nll_loss_forward_reduce2d_kernelI6__halfS0_iLi512EEvPT_S2_PKS1_PKT1_S4_blll
                                        ; -- End function
	.section	.AMDGPU.csdata,"",@progbits
; Kernel info:
; codeLenInByte = 788
; NumSgprs: 30
; NumVgprs: 18
; NumAgprs: 0
; TotalNumVgprs: 18
; ScratchSize: 0
; MemoryBound: 0
; FloatMode: 240
; IeeeMode: 1
; LDSByteSize: 2048 bytes/workgroup (compile time only)
; SGPRBlocks: 3
; VGPRBlocks: 2
; NumSGPRsForWavesPerEU: 30
; NumVGPRsForWavesPerEU: 18
; AccumOffset: 20
; Occupancy: 8
; WaveLimiterHint : 1
; COMPUTE_PGM_RSRC2:SCRATCH_EN: 0
; COMPUTE_PGM_RSRC2:USER_SGPR: 6
; COMPUTE_PGM_RSRC2:TRAP_HANDLER: 0
; COMPUTE_PGM_RSRC2:TGID_X_EN: 1
; COMPUTE_PGM_RSRC2:TGID_Y_EN: 0
; COMPUTE_PGM_RSRC2:TGID_Z_EN: 0
; COMPUTE_PGM_RSRC2:TIDIG_COMP_CNT: 0
; COMPUTE_PGM_RSRC3_GFX90A:ACCUM_OFFSET: 4
; COMPUTE_PGM_RSRC3_GFX90A:TG_SPLIT: 0
	.section	.text._Z32nll_loss_forward_reduce2d_kernelI6__halfS0_iLi1024EEvPT_S2_PKS1_PKT1_S4_blll,"axG",@progbits,_Z32nll_loss_forward_reduce2d_kernelI6__halfS0_iLi1024EEvPT_S2_PKS1_PKT1_S4_blll,comdat
	.protected	_Z32nll_loss_forward_reduce2d_kernelI6__halfS0_iLi1024EEvPT_S2_PKS1_PKT1_S4_blll ; -- Begin function _Z32nll_loss_forward_reduce2d_kernelI6__halfS0_iLi1024EEvPT_S2_PKS1_PKT1_S4_blll
	.globl	_Z32nll_loss_forward_reduce2d_kernelI6__halfS0_iLi1024EEvPT_S2_PKS1_PKT1_S4_blll
	.p2align	8
	.type	_Z32nll_loss_forward_reduce2d_kernelI6__halfS0_iLi1024EEvPT_S2_PKS1_PKT1_S4_blll,@function
_Z32nll_loss_forward_reduce2d_kernelI6__halfS0_iLi1024EEvPT_S2_PKS1_PKT1_S4_blll: ; @_Z32nll_loss_forward_reduce2d_kernelI6__halfS0_iLi1024EEvPT_S2_PKS1_PKT1_S4_blll
; %bb.0:
	s_load_dwordx4 s[8:11], s[4:5], 0x0
	s_load_dwordx4 s[12:15], s[4:5], 0x30
	v_mov_b32_e32 v1, 0
	v_lshlrev_b32_e32 v10, 1, v0
	ds_write_b16 v10, v1 offset:2048
	ds_write_b16 v10, v1
	s_waitcnt lgkmcnt(0)
	v_cmp_gt_i64_e32 vcc, s[12:13], v[0:1]
	s_and_saveexec_b64 s[6:7], vcc
	s_cbranch_execz .LBB9_8
; %bb.1:
	v_mad_u64_u32 v[2:3], s[24:25], s14, v0, 0
	s_load_dwordx2 s[16:17], s[4:5], 0x20
	s_load_dwordx4 s[0:3], s[4:5], 0x10
	s_load_dwordx2 s[18:19], s[4:5], 0x40
	v_mov_b32_e32 v4, v3
	v_mad_u64_u32 v[4:5], s[24:25], s15, v0, v[4:5]
	v_mov_b32_e32 v3, v4
	v_lshlrev_b64 v[2:3], 1, v[2:3]
	s_waitcnt lgkmcnt(0)
	s_cmp_lg_u64 s[16:17], 0
	v_mov_b32_e32 v4, s1
	v_add_co_u32_e32 v2, vcc, s0, v2
	s_cselect_b64 s[22:23], -1, 0
	v_addc_co_u32_e32 v3, vcc, v4, v3, vcc
	v_lshlrev_b32_e32 v4, 2, v0
	s_lshl_b64 s[14:15], s[14:15], 11
	v_mov_b32_e32 v5, s3
	v_add_co_u32_e32 v4, vcc, s2, v4
	v_cndmask_b32_e64 v6, 0, 1, s[22:23]
	v_or_b32_e32 v11, 0x800, v10
	s_mov_b64 s[20:21], 0
	v_addc_co_u32_e32 v5, vcc, 0, v5, vcc
	v_cmp_ne_u32_e64 s[0:1], 1, v6
	v_mov_b32_e32 v12, s15
	v_mov_b32_e32 v13, v1
	v_pk_mov_b32 v[6:7], v[0:1], v[0:1] op_sel:[0,1]
	s_branch .LBB9_5
.LBB9_2:                                ;   in Loop: Header=BB9_5 Depth=1
	v_mov_b32_e32 v15, s17
	v_add_co_u32_e32 v14, vcc, s16, v8
	v_addc_co_u32_e32 v15, vcc, v15, v9, vcc
	global_load_ushort v14, v[14:15], off
.LBB9_3:                                ;   in Loop: Header=BB9_5 Depth=1
	v_add_co_u32_e32 v8, vcc, v2, v8
	v_addc_co_u32_e32 v9, vcc, v3, v9, vcc
	global_load_ushort v8, v[8:9], off
	s_waitcnt vmcnt(1)
	v_add_f16_e32 v1, v14, v1
	s_waitcnt vmcnt(0)
	v_fma_f16 v13, -v14, v8, v13
	ds_write_b16 v11, v13
	ds_write_b16 v10, v1
.LBB9_4:                                ;   in Loop: Header=BB9_5 Depth=1
	s_or_b64 exec, exec, s[2:3]
	v_add_co_u32_e32 v6, vcc, 0x400, v6
	v_addc_co_u32_e32 v7, vcc, 0, v7, vcc
	v_add_co_u32_e32 v2, vcc, s14, v2
	v_addc_co_u32_e32 v3, vcc, v3, v12, vcc
	v_add_co_u32_e32 v4, vcc, 0x1000, v4
	v_cmp_le_i64_e64 s[2:3], s[12:13], v[6:7]
	s_or_b64 s[20:21], s[2:3], s[20:21]
	v_addc_co_u32_e32 v5, vcc, 0, v5, vcc
	s_andn2_b64 exec, exec, s[20:21]
	s_cbranch_execz .LBB9_8
.LBB9_5:                                ; =>This Inner Loop Header: Depth=1
	global_load_dword v8, v[4:5], off
	s_waitcnt vmcnt(0)
	v_ashrrev_i32_e32 v9, 31, v8
	v_cmp_ne_u64_e32 vcc, s[18:19], v[8:9]
	s_and_saveexec_b64 s[2:3], vcc
	s_cbranch_execz .LBB9_4
; %bb.6:                                ;   in Loop: Header=BB9_5 Depth=1
	s_and_b64 vcc, exec, s[0:1]
	v_lshlrev_b64 v[8:9], 1, v[8:9]
	s_cbranch_vccz .LBB9_2
; %bb.7:                                ;   in Loop: Header=BB9_5 Depth=1
	v_mov_b32_e32 v14, 0x3c00
	s_branch .LBB9_3
.LBB9_8:
	s_or_b64 exec, exec, s[6:7]
; %bb.9:
	v_cmp_eq_u32_e32 vcc, 0, v0
	s_waitcnt lgkmcnt(0)
	s_barrier
	s_and_saveexec_b64 s[0:1], vcc
	s_cbranch_execz .LBB9_13
; %bb.10:
	s_mov_b32 s0, 0
	v_mov_b32_e32 v0, 0
	v_mov_b32_e32 v1, 0
.LBB9_11:                               ; =>This Inner Loop Header: Depth=1
	v_mov_b32_e32 v14, s0
	ds_read_b128 v[2:5], v14 offset:2048
	ds_read_b128 v[6:9], v14
	ds_read_b128 v[10:13], v14 offset:16
	ds_read_b128 v[14:17], v14 offset:2064
	s_add_i32 s0, s0, 32
	s_waitcnt lgkmcnt(3)
	v_add_f16_e32 v1, v1, v2
	s_waitcnt lgkmcnt(2)
	v_add_f16_e32 v0, v0, v6
	v_add_f16_sdwa v1, v1, v2 dst_sel:DWORD dst_unused:UNUSED_PAD src0_sel:DWORD src1_sel:WORD_1
	v_add_f16_sdwa v0, v0, v6 dst_sel:DWORD dst_unused:UNUSED_PAD src0_sel:DWORD src1_sel:WORD_1
	v_add_f16_e32 v1, v1, v3
	v_add_f16_e32 v0, v0, v7
	v_add_f16_sdwa v1, v1, v3 dst_sel:DWORD dst_unused:UNUSED_PAD src0_sel:DWORD src1_sel:WORD_1
	v_add_f16_sdwa v0, v0, v7 dst_sel:DWORD dst_unused:UNUSED_PAD src0_sel:DWORD src1_sel:WORD_1
	v_add_f16_e32 v1, v1, v4
	;; [unrolled: 4-line block ×3, first 2 shown]
	v_add_f16_e32 v0, v0, v9
	v_add_f16_sdwa v1, v1, v5 dst_sel:DWORD dst_unused:UNUSED_PAD src0_sel:DWORD src1_sel:WORD_1
	v_add_f16_sdwa v0, v0, v9 dst_sel:DWORD dst_unused:UNUSED_PAD src0_sel:DWORD src1_sel:WORD_1
	s_waitcnt lgkmcnt(0)
	v_add_f16_e32 v1, v1, v14
	v_add_f16_e32 v0, v0, v10
	v_add_f16_sdwa v1, v1, v14 dst_sel:DWORD dst_unused:UNUSED_PAD src0_sel:DWORD src1_sel:WORD_1
	v_add_f16_sdwa v0, v0, v10 dst_sel:DWORD dst_unused:UNUSED_PAD src0_sel:DWORD src1_sel:WORD_1
	v_add_f16_e32 v1, v1, v15
	v_add_f16_e32 v0, v0, v11
	v_add_f16_sdwa v1, v1, v15 dst_sel:DWORD dst_unused:UNUSED_PAD src0_sel:DWORD src1_sel:WORD_1
	v_add_f16_sdwa v0, v0, v11 dst_sel:DWORD dst_unused:UNUSED_PAD src0_sel:DWORD src1_sel:WORD_1
	;; [unrolled: 4-line block ×3, first 2 shown]
	v_add_f16_e32 v1, v1, v17
	v_add_f16_e32 v0, v0, v13
	s_cmpk_eq_i32 s0, 0x800
	v_add_f16_sdwa v1, v1, v17 dst_sel:DWORD dst_unused:UNUSED_PAD src0_sel:DWORD src1_sel:WORD_1
	v_add_f16_sdwa v0, v0, v13 dst_sel:DWORD dst_unused:UNUSED_PAD src0_sel:DWORD src1_sel:WORD_1
	s_cbranch_scc0 .LBB9_11
; %bb.12:
	v_cvt_f32_f16_e32 v2, v0
	v_cvt_f32_f16_e32 v3, v1
	s_load_dword s0, s[4:5], 0x28
	v_rcp_f32_e32 v4, v2
	s_waitcnt lgkmcnt(0)
	s_bitcmp1_b32 s0, 0
	v_mul_f32_e32 v5, v3, v4
	v_mad_f32 v6, -v2, v5, v3
	v_mac_f32_e32 v5, v6, v4
	v_mad_f32 v2, -v2, v5, v3
	v_mul_f32_e32 v2, v2, v4
	v_and_b32_e32 v2, 0xff800000, v2
	v_add_f32_e32 v2, v2, v5
	v_cvt_f16_f32_e32 v2, v2
	v_mov_b32_e32 v3, 0
	global_store_short v3, v0, s[10:11]
	s_cselect_b64 vcc, -1, 0
	v_div_fixup_f16 v0, v2, v0, v1
	v_cndmask_b32_e32 v0, v1, v0, vcc
	global_store_short v3, v0, s[8:9]
.LBB9_13:
	s_endpgm
	.section	.rodata,"a",@progbits
	.p2align	6, 0x0
	.amdhsa_kernel _Z32nll_loss_forward_reduce2d_kernelI6__halfS0_iLi1024EEvPT_S2_PKS1_PKT1_S4_blll
		.amdhsa_group_segment_fixed_size 4096
		.amdhsa_private_segment_fixed_size 0
		.amdhsa_kernarg_size 72
		.amdhsa_user_sgpr_count 6
		.amdhsa_user_sgpr_private_segment_buffer 1
		.amdhsa_user_sgpr_dispatch_ptr 0
		.amdhsa_user_sgpr_queue_ptr 0
		.amdhsa_user_sgpr_kernarg_segment_ptr 1
		.amdhsa_user_sgpr_dispatch_id 0
		.amdhsa_user_sgpr_flat_scratch_init 0
		.amdhsa_user_sgpr_kernarg_preload_length 0
		.amdhsa_user_sgpr_kernarg_preload_offset 0
		.amdhsa_user_sgpr_private_segment_size 0
		.amdhsa_uses_dynamic_stack 0
		.amdhsa_system_sgpr_private_segment_wavefront_offset 0
		.amdhsa_system_sgpr_workgroup_id_x 1
		.amdhsa_system_sgpr_workgroup_id_y 0
		.amdhsa_system_sgpr_workgroup_id_z 0
		.amdhsa_system_sgpr_workgroup_info 0
		.amdhsa_system_vgpr_workitem_id 0
		.amdhsa_next_free_vgpr 18
		.amdhsa_next_free_sgpr 26
		.amdhsa_accum_offset 20
		.amdhsa_reserve_vcc 1
		.amdhsa_reserve_flat_scratch 0
		.amdhsa_float_round_mode_32 0
		.amdhsa_float_round_mode_16_64 0
		.amdhsa_float_denorm_mode_32 3
		.amdhsa_float_denorm_mode_16_64 3
		.amdhsa_dx10_clamp 1
		.amdhsa_ieee_mode 1
		.amdhsa_fp16_overflow 0
		.amdhsa_tg_split 0
		.amdhsa_exception_fp_ieee_invalid_op 0
		.amdhsa_exception_fp_denorm_src 0
		.amdhsa_exception_fp_ieee_div_zero 0
		.amdhsa_exception_fp_ieee_overflow 0
		.amdhsa_exception_fp_ieee_underflow 0
		.amdhsa_exception_fp_ieee_inexact 0
		.amdhsa_exception_int_div_zero 0
	.end_amdhsa_kernel
	.section	.text._Z32nll_loss_forward_reduce2d_kernelI6__halfS0_iLi1024EEvPT_S2_PKS1_PKT1_S4_blll,"axG",@progbits,_Z32nll_loss_forward_reduce2d_kernelI6__halfS0_iLi1024EEvPT_S2_PKS1_PKT1_S4_blll,comdat
.Lfunc_end9:
	.size	_Z32nll_loss_forward_reduce2d_kernelI6__halfS0_iLi1024EEvPT_S2_PKS1_PKT1_S4_blll, .Lfunc_end9-_Z32nll_loss_forward_reduce2d_kernelI6__halfS0_iLi1024EEvPT_S2_PKS1_PKT1_S4_blll
                                        ; -- End function
	.section	.AMDGPU.csdata,"",@progbits
; Kernel info:
; codeLenInByte = 788
; NumSgprs: 30
; NumVgprs: 18
; NumAgprs: 0
; TotalNumVgprs: 18
; ScratchSize: 0
; MemoryBound: 0
; FloatMode: 240
; IeeeMode: 1
; LDSByteSize: 4096 bytes/workgroup (compile time only)
; SGPRBlocks: 3
; VGPRBlocks: 2
; NumSGPRsForWavesPerEU: 30
; NumVGPRsForWavesPerEU: 18
; AccumOffset: 20
; Occupancy: 8
; WaveLimiterHint : 1
; COMPUTE_PGM_RSRC2:SCRATCH_EN: 0
; COMPUTE_PGM_RSRC2:USER_SGPR: 6
; COMPUTE_PGM_RSRC2:TRAP_HANDLER: 0
; COMPUTE_PGM_RSRC2:TGID_X_EN: 1
; COMPUTE_PGM_RSRC2:TGID_Y_EN: 0
; COMPUTE_PGM_RSRC2:TGID_Z_EN: 0
; COMPUTE_PGM_RSRC2:TIDIG_COMP_CNT: 0
; COMPUTE_PGM_RSRC3_GFX90A:ACCUM_OFFSET: 4
; COMPUTE_PGM_RSRC3_GFX90A:TG_SPLIT: 0
	.text
	.p2alignl 6, 3212836864
	.fill 256, 4, 3212836864
	.type	__hip_cuid_538c06318ba52535,@object ; @__hip_cuid_538c06318ba52535
	.section	.bss,"aw",@nobits
	.globl	__hip_cuid_538c06318ba52535
__hip_cuid_538c06318ba52535:
	.byte	0                               ; 0x0
	.size	__hip_cuid_538c06318ba52535, 1

	.ident	"AMD clang version 19.0.0git (https://github.com/RadeonOpenCompute/llvm-project roc-6.4.0 25133 c7fe45cf4b819c5991fe208aaa96edf142730f1d)"
	.section	".note.GNU-stack","",@progbits
	.addrsig
	.addrsig_sym __hip_cuid_538c06318ba52535
	.amdgpu_metadata
---
amdhsa.kernels:
  - .agpr_count:     0
    .args:
      - .actual_access:  write_only
        .address_space:  global
        .offset:         0
        .size:           8
        .value_kind:     global_buffer
      - .actual_access:  write_only
        .address_space:  global
        .offset:         8
        .size:           8
        .value_kind:     global_buffer
      - .actual_access:  read_only
        .address_space:  global
        .offset:         16
        .size:           8
        .value_kind:     global_buffer
      - .actual_access:  read_only
        .address_space:  global
        .offset:         24
        .size:           8
        .value_kind:     global_buffer
      - .actual_access:  read_only
        .address_space:  global
        .offset:         32
        .size:           8
        .value_kind:     global_buffer
      - .offset:         40
        .size:           1
        .value_kind:     by_value
      - .offset:         48
        .size:           8
        .value_kind:     by_value
      - .offset:         56
        .size:           8
        .value_kind:     by_value
      - .offset:         64
        .size:           8
        .value_kind:     by_value
    .group_segment_fixed_size: 512
    .kernarg_segment_align: 8
    .kernarg_segment_size: 72
    .language:       OpenCL C
    .language_version:
      - 2
      - 0
    .max_flat_workgroup_size: 1024
    .name:           _Z32nll_loss_forward_reduce2d_kernelIffiLi64EEvPT_S1_PKS0_PKT1_S3_blll
    .private_segment_fixed_size: 0
    .sgpr_count:     30
    .sgpr_spill_count: 0
    .symbol:         _Z32nll_loss_forward_reduce2d_kernelIffiLi64EEvPT_S1_PKS0_PKT1_S3_blll.kd
    .uniform_work_group_size: 1
    .uses_dynamic_stack: false
    .vgpr_count:     40
    .vgpr_spill_count: 0
    .wavefront_size: 64
  - .agpr_count:     0
    .args:
      - .actual_access:  write_only
        .address_space:  global
        .offset:         0
        .size:           8
        .value_kind:     global_buffer
      - .actual_access:  write_only
        .address_space:  global
        .offset:         8
        .size:           8
        .value_kind:     global_buffer
      - .actual_access:  read_only
        .address_space:  global
        .offset:         16
        .size:           8
        .value_kind:     global_buffer
      - .actual_access:  read_only
        .address_space:  global
        .offset:         24
        .size:           8
        .value_kind:     global_buffer
      - .actual_access:  read_only
        .address_space:  global
        .offset:         32
        .size:           8
        .value_kind:     global_buffer
      - .offset:         40
        .size:           1
        .value_kind:     by_value
      - .offset:         48
        .size:           8
        .value_kind:     by_value
      - .offset:         56
        .size:           8
        .value_kind:     by_value
      - .offset:         64
        .size:           8
        .value_kind:     by_value
    .group_segment_fixed_size: 1024
    .kernarg_segment_align: 8
    .kernarg_segment_size: 72
    .language:       OpenCL C
    .language_version:
      - 2
      - 0
    .max_flat_workgroup_size: 1024
    .name:           _Z32nll_loss_forward_reduce2d_kernelIffiLi128EEvPT_S1_PKS0_PKT1_S3_blll
    .private_segment_fixed_size: 0
    .sgpr_count:     30
    .sgpr_spill_count: 0
    .symbol:         _Z32nll_loss_forward_reduce2d_kernelIffiLi128EEvPT_S1_PKS0_PKT1_S3_blll.kd
    .uniform_work_group_size: 1
    .uses_dynamic_stack: false
    .vgpr_count:     28
    .vgpr_spill_count: 0
    .wavefront_size: 64
  - .agpr_count:     0
    .args:
      - .actual_access:  write_only
        .address_space:  global
        .offset:         0
        .size:           8
        .value_kind:     global_buffer
      - .actual_access:  write_only
        .address_space:  global
        .offset:         8
        .size:           8
        .value_kind:     global_buffer
      - .actual_access:  read_only
        .address_space:  global
        .offset:         16
        .size:           8
        .value_kind:     global_buffer
      - .actual_access:  read_only
        .address_space:  global
        .offset:         24
        .size:           8
        .value_kind:     global_buffer
      - .actual_access:  read_only
        .address_space:  global
        .offset:         32
        .size:           8
        .value_kind:     global_buffer
      - .offset:         40
        .size:           1
        .value_kind:     by_value
      - .offset:         48
        .size:           8
        .value_kind:     by_value
      - .offset:         56
        .size:           8
        .value_kind:     by_value
      - .offset:         64
        .size:           8
        .value_kind:     by_value
    .group_segment_fixed_size: 2048
    .kernarg_segment_align: 8
    .kernarg_segment_size: 72
    .language:       OpenCL C
    .language_version:
      - 2
      - 0
    .max_flat_workgroup_size: 1024
    .name:           _Z32nll_loss_forward_reduce2d_kernelIffiLi256EEvPT_S1_PKS0_PKT1_S3_blll
    .private_segment_fixed_size: 0
    .sgpr_count:     30
    .sgpr_spill_count: 0
    .symbol:         _Z32nll_loss_forward_reduce2d_kernelIffiLi256EEvPT_S1_PKS0_PKT1_S3_blll.kd
    .uniform_work_group_size: 1
    .uses_dynamic_stack: false
    .vgpr_count:     36
    .vgpr_spill_count: 0
    .wavefront_size: 64
  - .agpr_count:     0
    .args:
      - .actual_access:  write_only
        .address_space:  global
        .offset:         0
        .size:           8
        .value_kind:     global_buffer
      - .actual_access:  write_only
        .address_space:  global
        .offset:         8
        .size:           8
        .value_kind:     global_buffer
      - .actual_access:  read_only
        .address_space:  global
        .offset:         16
        .size:           8
        .value_kind:     global_buffer
      - .actual_access:  read_only
        .address_space:  global
        .offset:         24
        .size:           8
        .value_kind:     global_buffer
      - .actual_access:  read_only
        .address_space:  global
        .offset:         32
        .size:           8
        .value_kind:     global_buffer
      - .offset:         40
        .size:           1
        .value_kind:     by_value
      - .offset:         48
        .size:           8
        .value_kind:     by_value
      - .offset:         56
        .size:           8
        .value_kind:     by_value
      - .offset:         64
        .size:           8
        .value_kind:     by_value
    .group_segment_fixed_size: 4096
    .kernarg_segment_align: 8
    .kernarg_segment_size: 72
    .language:       OpenCL C
    .language_version:
      - 2
      - 0
    .max_flat_workgroup_size: 1024
    .name:           _Z32nll_loss_forward_reduce2d_kernelIffiLi512EEvPT_S1_PKS0_PKT1_S3_blll
    .private_segment_fixed_size: 0
    .sgpr_count:     30
    .sgpr_spill_count: 0
    .symbol:         _Z32nll_loss_forward_reduce2d_kernelIffiLi512EEvPT_S1_PKS0_PKT1_S3_blll.kd
    .uniform_work_group_size: 1
    .uses_dynamic_stack: false
    .vgpr_count:     36
    .vgpr_spill_count: 0
    .wavefront_size: 64
  - .agpr_count:     0
    .args:
      - .actual_access:  write_only
        .address_space:  global
        .offset:         0
        .size:           8
        .value_kind:     global_buffer
      - .actual_access:  write_only
        .address_space:  global
        .offset:         8
        .size:           8
        .value_kind:     global_buffer
      - .actual_access:  read_only
        .address_space:  global
        .offset:         16
        .size:           8
        .value_kind:     global_buffer
      - .actual_access:  read_only
        .address_space:  global
        .offset:         24
        .size:           8
        .value_kind:     global_buffer
      - .actual_access:  read_only
        .address_space:  global
        .offset:         32
        .size:           8
        .value_kind:     global_buffer
      - .offset:         40
        .size:           1
        .value_kind:     by_value
      - .offset:         48
        .size:           8
        .value_kind:     by_value
      - .offset:         56
        .size:           8
        .value_kind:     by_value
      - .offset:         64
        .size:           8
        .value_kind:     by_value
    .group_segment_fixed_size: 8192
    .kernarg_segment_align: 8
    .kernarg_segment_size: 72
    .language:       OpenCL C
    .language_version:
      - 2
      - 0
    .max_flat_workgroup_size: 1024
    .name:           _Z32nll_loss_forward_reduce2d_kernelIffiLi1024EEvPT_S1_PKS0_PKT1_S3_blll
    .private_segment_fixed_size: 0
    .sgpr_count:     30
    .sgpr_spill_count: 0
    .symbol:         _Z32nll_loss_forward_reduce2d_kernelIffiLi1024EEvPT_S1_PKS0_PKT1_S3_blll.kd
    .uniform_work_group_size: 1
    .uses_dynamic_stack: false
    .vgpr_count:     36
    .vgpr_spill_count: 0
    .wavefront_size: 64
  - .agpr_count:     0
    .args:
      - .actual_access:  write_only
        .address_space:  global
        .offset:         0
        .size:           8
        .value_kind:     global_buffer
      - .actual_access:  write_only
        .address_space:  global
        .offset:         8
        .size:           8
        .value_kind:     global_buffer
      - .actual_access:  read_only
        .address_space:  global
        .offset:         16
        .size:           8
        .value_kind:     global_buffer
      - .actual_access:  read_only
        .address_space:  global
        .offset:         24
        .size:           8
        .value_kind:     global_buffer
      - .actual_access:  read_only
        .address_space:  global
        .offset:         32
        .size:           8
        .value_kind:     global_buffer
      - .offset:         40
        .size:           1
        .value_kind:     by_value
      - .offset:         48
        .size:           8
        .value_kind:     by_value
      - .offset:         56
        .size:           8
        .value_kind:     by_value
      - .offset:         64
        .size:           8
        .value_kind:     by_value
    .group_segment_fixed_size: 256
    .kernarg_segment_align: 8
    .kernarg_segment_size: 72
    .language:       OpenCL C
    .language_version:
      - 2
      - 0
    .max_flat_workgroup_size: 1024
    .name:           _Z32nll_loss_forward_reduce2d_kernelI6__halfS0_iLi64EEvPT_S2_PKS1_PKT1_S4_blll
    .private_segment_fixed_size: 0
    .sgpr_count:     30
    .sgpr_spill_count: 0
    .symbol:         _Z32nll_loss_forward_reduce2d_kernelI6__halfS0_iLi64EEvPT_S2_PKS1_PKT1_S4_blll.kd
    .uniform_work_group_size: 1
    .uses_dynamic_stack: false
    .vgpr_count:     27
    .vgpr_spill_count: 0
    .wavefront_size: 64
  - .agpr_count:     0
    .args:
      - .actual_access:  write_only
        .address_space:  global
        .offset:         0
        .size:           8
        .value_kind:     global_buffer
      - .actual_access:  write_only
        .address_space:  global
        .offset:         8
        .size:           8
        .value_kind:     global_buffer
      - .actual_access:  read_only
        .address_space:  global
        .offset:         16
        .size:           8
        .value_kind:     global_buffer
      - .actual_access:  read_only
        .address_space:  global
        .offset:         24
        .size:           8
        .value_kind:     global_buffer
      - .actual_access:  read_only
        .address_space:  global
        .offset:         32
        .size:           8
        .value_kind:     global_buffer
      - .offset:         40
        .size:           1
        .value_kind:     by_value
      - .offset:         48
        .size:           8
        .value_kind:     by_value
      - .offset:         56
        .size:           8
        .value_kind:     by_value
      - .offset:         64
        .size:           8
        .value_kind:     by_value
    .group_segment_fixed_size: 512
    .kernarg_segment_align: 8
    .kernarg_segment_size: 72
    .language:       OpenCL C
    .language_version:
      - 2
      - 0
    .max_flat_workgroup_size: 1024
    .name:           _Z32nll_loss_forward_reduce2d_kernelI6__halfS0_iLi128EEvPT_S2_PKS1_PKT1_S4_blll
    .private_segment_fixed_size: 0
    .sgpr_count:     30
    .sgpr_spill_count: 0
    .symbol:         _Z32nll_loss_forward_reduce2d_kernelI6__halfS0_iLi128EEvPT_S2_PKS1_PKT1_S4_blll.kd
    .uniform_work_group_size: 1
    .uses_dynamic_stack: false
    .vgpr_count:     18
    .vgpr_spill_count: 0
    .wavefront_size: 64
  - .agpr_count:     0
    .args:
      - .actual_access:  write_only
        .address_space:  global
        .offset:         0
        .size:           8
        .value_kind:     global_buffer
      - .actual_access:  write_only
        .address_space:  global
        .offset:         8
        .size:           8
        .value_kind:     global_buffer
      - .actual_access:  read_only
        .address_space:  global
        .offset:         16
        .size:           8
        .value_kind:     global_buffer
      - .actual_access:  read_only
        .address_space:  global
        .offset:         24
        .size:           8
        .value_kind:     global_buffer
      - .actual_access:  read_only
        .address_space:  global
        .offset:         32
        .size:           8
        .value_kind:     global_buffer
      - .offset:         40
        .size:           1
        .value_kind:     by_value
      - .offset:         48
        .size:           8
        .value_kind:     by_value
      - .offset:         56
        .size:           8
        .value_kind:     by_value
      - .offset:         64
        .size:           8
        .value_kind:     by_value
    .group_segment_fixed_size: 1024
    .kernarg_segment_align: 8
    .kernarg_segment_size: 72
    .language:       OpenCL C
    .language_version:
      - 2
      - 0
    .max_flat_workgroup_size: 1024
    .name:           _Z32nll_loss_forward_reduce2d_kernelI6__halfS0_iLi256EEvPT_S2_PKS1_PKT1_S4_blll
    .private_segment_fixed_size: 0
    .sgpr_count:     30
    .sgpr_spill_count: 0
    .symbol:         _Z32nll_loss_forward_reduce2d_kernelI6__halfS0_iLi256EEvPT_S2_PKS1_PKT1_S4_blll.kd
    .uniform_work_group_size: 1
    .uses_dynamic_stack: false
    .vgpr_count:     18
    .vgpr_spill_count: 0
    .wavefront_size: 64
  - .agpr_count:     0
    .args:
      - .actual_access:  write_only
        .address_space:  global
        .offset:         0
        .size:           8
        .value_kind:     global_buffer
      - .actual_access:  write_only
        .address_space:  global
        .offset:         8
        .size:           8
        .value_kind:     global_buffer
      - .actual_access:  read_only
        .address_space:  global
        .offset:         16
        .size:           8
        .value_kind:     global_buffer
      - .actual_access:  read_only
        .address_space:  global
        .offset:         24
        .size:           8
        .value_kind:     global_buffer
      - .actual_access:  read_only
        .address_space:  global
        .offset:         32
        .size:           8
        .value_kind:     global_buffer
      - .offset:         40
        .size:           1
        .value_kind:     by_value
      - .offset:         48
        .size:           8
        .value_kind:     by_value
      - .offset:         56
        .size:           8
        .value_kind:     by_value
      - .offset:         64
        .size:           8
        .value_kind:     by_value
    .group_segment_fixed_size: 2048
    .kernarg_segment_align: 8
    .kernarg_segment_size: 72
    .language:       OpenCL C
    .language_version:
      - 2
      - 0
    .max_flat_workgroup_size: 1024
    .name:           _Z32nll_loss_forward_reduce2d_kernelI6__halfS0_iLi512EEvPT_S2_PKS1_PKT1_S4_blll
    .private_segment_fixed_size: 0
    .sgpr_count:     30
    .sgpr_spill_count: 0
    .symbol:         _Z32nll_loss_forward_reduce2d_kernelI6__halfS0_iLi512EEvPT_S2_PKS1_PKT1_S4_blll.kd
    .uniform_work_group_size: 1
    .uses_dynamic_stack: false
    .vgpr_count:     18
    .vgpr_spill_count: 0
    .wavefront_size: 64
  - .agpr_count:     0
    .args:
      - .actual_access:  write_only
        .address_space:  global
        .offset:         0
        .size:           8
        .value_kind:     global_buffer
      - .actual_access:  write_only
        .address_space:  global
        .offset:         8
        .size:           8
        .value_kind:     global_buffer
      - .actual_access:  read_only
        .address_space:  global
        .offset:         16
        .size:           8
        .value_kind:     global_buffer
      - .actual_access:  read_only
        .address_space:  global
        .offset:         24
        .size:           8
        .value_kind:     global_buffer
      - .actual_access:  read_only
        .address_space:  global
        .offset:         32
        .size:           8
        .value_kind:     global_buffer
      - .offset:         40
        .size:           1
        .value_kind:     by_value
      - .offset:         48
        .size:           8
        .value_kind:     by_value
      - .offset:         56
        .size:           8
        .value_kind:     by_value
      - .offset:         64
        .size:           8
        .value_kind:     by_value
    .group_segment_fixed_size: 4096
    .kernarg_segment_align: 8
    .kernarg_segment_size: 72
    .language:       OpenCL C
    .language_version:
      - 2
      - 0
    .max_flat_workgroup_size: 1024
    .name:           _Z32nll_loss_forward_reduce2d_kernelI6__halfS0_iLi1024EEvPT_S2_PKS1_PKT1_S4_blll
    .private_segment_fixed_size: 0
    .sgpr_count:     30
    .sgpr_spill_count: 0
    .symbol:         _Z32nll_loss_forward_reduce2d_kernelI6__halfS0_iLi1024EEvPT_S2_PKS1_PKT1_S4_blll.kd
    .uniform_work_group_size: 1
    .uses_dynamic_stack: false
    .vgpr_count:     18
    .vgpr_spill_count: 0
    .wavefront_size: 64
amdhsa.target:   amdgcn-amd-amdhsa--gfx90a
amdhsa.version:
  - 1
  - 2
...

	.end_amdgpu_metadata
